;; amdgpu-corpus repo=ROCm/aiter kind=harvested arch=n/a opt=n/a

/root/src/amdgpu-assembly/repos/ROCm__aiter/hsa/gfx942/fmoe_2stages/fmoe_stage1_bf16_pertokenFp8_doweight_g1u1_16x128_4tg_pf3.co:	file format elf64-amdgpu

Disassembly of section .text:

0000000000002a00 <_ZN5aiter57fmoe_stage1_bf16_pertokenFp8_doweight_g1u1_16x128_4tg_pf3E>:
	s_and_b32 s1, s1, 0xffff                                   // 000000002A00: 8601FF01 0000FFFF
	s_load_dwordx2 s[8:9], s[0:1], 0x0                         // 000000002A08: C0060200 00000000
	s_load_dwordx2 s[20:21], s[0:1], 0x10                      // 000000002A10: C0060500 00000010
	s_load_dwordx2 s[24:25], s[0:1], 0x20                      // 000000002A18: C0060600 00000020
	s_load_dwordx2 s[48:49], s[0:1], 0x30                      // 000000002A20: C0060C00 00000030
	s_load_dwordx2 s[28:29], s[0:1], 0x40                      // 000000002A28: C0060700 00000040
	s_load_dwordx2 s[32:33], s[0:1], 0x50                      // 000000002A30: C0060800 00000050
	s_load_dwordx2 s[36:37], s[0:1], 0x60                      // 000000002A38: C0060900 00000060
	s_load_dwordx2 s[12:13], s[0:1], 0x70                      // 000000002A40: C0060300 00000070
	s_load_dwordx2 s[44:45], s[0:1], 0x80                      // 000000002A48: C0060B00 00000080
	s_mov_b32 s89, 0                                           // 000000002A50: BED90080
	s_load_dword s64, s[0:1], 0x90                             // 000000002A54: C0021000 00000090
	s_load_dword s65, s[0:1], 0xa0                             // 000000002A5C: C0021040 000000A0
	s_load_dword s66, s[0:1], 0xb0                             // 000000002A64: C0021080 000000B0
	s_load_dword s67, s[0:1], 0xc0                             // 000000002A6C: C00210C0 000000C0
	s_load_dword s68, s[0:1], 0xd0                             // 000000002A74: C0021100 000000D0
	s_load_dword s69, s[0:1], 0xe0                             // 000000002A7C: C0021140 000000E0
	s_load_dword s71, s[0:1], 0xf0                             // 000000002A84: C00211C0 000000F0
	s_load_dword s72, s[0:1], 0x100                            // 000000002A8C: C0021200 00000100
	s_load_dword s74, s[0:1], 0x110                            // 000000002A94: C0021280 00000110
	s_load_dword s76, s[0:1], 0x120                            // 000000002A9C: C0021300 00000120
	s_load_dword s56, s[0:1], 0x130                            // 000000002AA4: C0020E00 00000130
	s_load_dword s88, s[0:1], 0x140                            // 000000002AAC: C0021600 00000140
	s_load_dword s89, s[0:1], 0x150                            // 000000002AB4: C0021640 00000150
	s_load_dwordx2 s[40:41], s[0:1], 0x160                     // 000000002ABC: C0060A00 00000160
	v_lshrrev_b32_e32 v1, 10, v0                               // 000000002AC4: 2002008A
	v_lshrrev_b32_e32 v2, 10, v1                               // 000000002AC8: 2004028A
	v_and_b32_e32 v2, 0x3ff, v2                                // 000000002ACC: 260404FF 000003FF
	v_and_b32_e32 v1, 0x3ff, v1                                // 000000002AD4: 260202FF 000003FF
	v_and_b32_e32 v0, 0x3ff, v0                                // 000000002ADC: 260000FF 000003FF
	v_lshrrev_b32_e32 v3, 6, v0                                // 000000002AE4: 20060086
	v_and_b32_e32 v0, 63, v0                                   // 000000002AE8: 260000BF
	s_mov_b32 s2, s2                                           // 000000002AEC: BE820002
	s_mov_b32 s3, s3                                           // 000000002AF0: BE830003
	s_mov_b32 s4, s4                                           // 000000002AF4: BE840004
	v_readfirstlane_b32 s7, v3                                 // 000000002AF8: 7E0E0503
	s_waitcnt lgkmcnt(0)                                       // 000000002AFC: BF8CC07F
	s_and_b32 s49, s49, 0xffff                                 // 000000002B00: 8631FF31 0000FFFF
	s_load_dword s48, s[48:49], 0x0                            // 000000002B08: C0020C18 00000000
	s_and_b32 s45, s45, 0xffff                                 // 000000002B10: 862DFF2D 0000FFFF
	s_and_b32 s9, s9, 0xffff                                   // 000000002B18: 8609FF09 0000FFFF
	s_mul_i32 s60, s66, s68                                    // 000000002B20: 923C4442
	s_mul_i32 s61, s66, 4                                      // 000000002B24: 923D8442
	s_mov_b32 s22, s60                                         // 000000002B28: BE96003C
	s_mov_b32 s26, -16                                         // 000000002B2C: BE9A00D0
	s_mov_b32 s30, s61                                         // 000000002B30: BE9E003D
	s_mov_b32 s14, 64                                          // 000000002B34: BE8E00C0
	s_mov_b32 s38, -16                                         // 000000002B38: BEA600D0
	s_mov_b32 s10, -16                                         // 000000002B3C: BE8A00D0
	s_mov_b32 s34, 0x200                                       // 000000002B40: BEA200FF 00000200
	s_mov_b32 s23, 0x20000                                     // 000000002B48: BE9700FF 00020000
	s_mov_b32 s27, 0x20000                                     // 000000002B50: BE9B00FF 00020000
	s_mov_b32 s31, 0x20000                                     // 000000002B58: BE9F00FF 00020000
	s_mov_b32 s35, 0x20000                                     // 000000002B60: BEA300FF 00020000
	s_mov_b32 s15, 0x20000                                     // 000000002B68: BE8F00FF 00020000
	s_mov_b32 s39, 0x20000                                     // 000000002B70: BEA700FF 00020000
	s_mov_b32 s11, 0x20000                                     // 000000002B78: BE8B00FF 00020000
	s_and_b32 s21, s21, 0xffff                                 // 000000002B80: 8615FF15 0000FFFF
	s_and_b32 s25, s25, 0xffff                                 // 000000002B88: 8619FF19 0000FFFF
	s_and_b32 s29, s29, 0xffff                                 // 000000002B90: 861DFF1D 0000FFFF
	s_and_b32 s33, s33, 0xffff                                 // 000000002B98: 8621FF21 0000FFFF
	s_and_b32 s13, s13, 0xffff                                 // 000000002BA0: 860DFF0D 0000FFFF
	s_and_b32 s37, s37, 0xffff                                 // 000000002BA8: 8625FF25 0000FFFF
	s_or_b32 s21, s21, 0x40000                                 // 000000002BB0: 8715FF15 00040000
	s_or_b32 s25, s25, 0x40000                                 // 000000002BB8: 8719FF19 00040000
	s_or_b32 s29, s29, 0x40000                                 // 000000002BC0: 871DFF1D 00040000
	s_or_b32 s33, s33, 0x40000                                 // 000000002BC8: 8721FF21 00040000
	s_or_b32 s13, s13, 0x40000                                 // 000000002BD0: 870DFF0D 00040000
	s_or_b32 s37, s37, 0x40000                                 // 000000002BD8: 8725FF25 00040000
	s_mov_b32 s42, -16                                         // 000000002BE0: BEAA00D0
	s_mov_b32 s43, 0x20000                                     // 000000002BE4: BEAB00FF 00020000
	s_and_b32 s41, s41, 0xffff                                 // 000000002BEC: 8629FF29 0000FFFF
	s_or_b32 s41, s41, 0x40000                                 // 000000002BF4: 8729FF29 00040000
	v_accvgpr_write_b32 a63, 0                                 // 000000002BFC: D3D9403F 18000080
	v_mov_b32_e32 v56, 0                                       // 000000002C04: 7E700280
	s_waitcnt lgkmcnt(0)                                       // 000000002C08: BF8CC07F
	s_mul_i32 s60, s3, 16                                      // 000000002C0C: 923C9003
	s_cmp_lt_i32 s60, s48                                      // 000000002C10: BF04303C
	s_cbranch_scc0 label_0AC6                                  // 000000002C14: BF840A3D
	s_mov_b32 s80, 0                                           // 000000002C18: BED00080
	s_lshr_b32 s81, s64, s88                                   // 000000002C1C: 8F515840
	s_mul_i32 s60, s3, 4                                       // 000000002C20: 923C8403
	s_add_u32 s44, s60, s44                                    // 000000002C24: 802C2C3C
	s_addc_u32 s45, 0, s45                                     // 000000002C28: 822D2D80
	s_load_dword s5, s[44:45], 0x0                             // 000000002C2C: C0020156 00000000
	s_mul_i32 s60, s3, 16                                      // 000000002C34: 923C9003
	s_mul_i32 s60, 4, s60                                      // 000000002C38: 923C3C84
	s_add_u32 s12, s60, s12                                    // 000000002C3C: 800C0C3C
	s_addc_u32 s13, 0, s13                                     // 000000002C40: 820D0D80
	v_and_b32_e32 v4, 15, v0                                   // 000000002C44: 2608008F
	v_lshlrev_b32_e32 v4, 2, v4                                // 000000002C48: 24080882
	buffer_load_dword v30, v4, s[12:15], 0 offen               // 000000002C4C: E0501000 80031E04
	v_add_u32_e32 v4, 64, v4                                   // 000000002C54: 680808C0
	s_mul_i32 s60, 4, s7                                       // 000000002C58: 923C0784
	v_lshlrev_b32_e32 v4, 4, v0                                // 000000002C5C: 24080084
	v_add_u32_e32 v4, s60, v4                                  // 000000002C60: 6808083C
	buffer_load_dword v3, v4, s[12:15], 0 offen                // 000000002C64: E0501000 80030304
	v_mov_b32_e32 v40, 0                                       // 000000002C6C: 7E500280
	v_mov_b32_e32 v48, 0                                       // 000000002C70: 7E600280
	v_mov_b32_e32 v41, 0                                       // 000000002C74: 7E520280
	v_mov_b32_e32 v49, 0                                       // 000000002C78: 7E620280
	v_mov_b32_e32 v42, 0                                       // 000000002C7C: 7E540280
	v_mov_b32_e32 v50, 0                                       // 000000002C80: 7E640280
	v_mov_b32_e32 v43, 0                                       // 000000002C84: 7E560280
	v_mov_b32_e32 v51, 0                                       // 000000002C88: 7E660280
	v_mov_b32_e32 v44, 0                                       // 000000002C8C: 7E580280
	v_mov_b32_e32 v52, 0                                       // 000000002C90: 7E680280
	v_mov_b32_e32 v45, 0                                       // 000000002C94: 7E5A0280
	v_mov_b32_e32 v53, 0                                       // 000000002C98: 7E6A0280
	v_mov_b32_e32 v46, 0                                       // 000000002C9C: 7E5C0280
	v_mov_b32_e32 v54, 0                                       // 000000002CA0: 7E6C0280
	v_mov_b32_e32 v47, 0                                       // 000000002CA4: 7E5E0280
	v_mov_b32_e32 v55, 0                                       // 000000002CA8: 7E6E0280
	s_mul_i32 s60, s2, 0x100                                   // 000000002CAC: 923CFF02 00000100
	s_cmp_eq_u32 s88, 0                                        // 000000002CB4: BF068058
	s_cselect_b32 s61, 1, 2                                    // 000000002CB8: 853D8281
	s_mul_i32 s60, s60, s61                                    // 000000002CBC: 923C3D3C
	s_mov_b32 s90, s8                                          // 000000002CC0: BEDA0008
	s_mov_b32 s91, s9                                          // 000000002CC4: BEDB0009
	s_add_u32 s8, s60, s8                                      // 000000002CC8: 8008083C
	s_addc_u32 s9, 0, s9                                       // 000000002CCC: 82090980
	v_lshrrev_b32_e32 v4, 4, v0                                // 000000002CD0: 20080084
	v_mul_lo_u32 v20, 34, v4                                   // 000000002CD4: D2850014 000208A2
	v_and_b32_e32 v4, 15, v0                                   // 000000002CDC: 2608008F
	v_mul_lo_u32 v5, 2, v4                                     // 000000002CE0: D2850005 00020882
	v_add_u32_e32 v20, v5, v20                                 // 000000002CE8: 68282905
	s_mul_i32 s60, s7, 0x88                                    // 000000002CEC: 923CFF07 00000088
	v_add_u32_e32 v20, s60, v20                                // 000000002CF4: 6828283C
	v_lshlrev_b32_e32 v20, 2, v20                              // 000000002CF8: 24282882
	v_and_b32_e32 v4, 31, v0                                   // 000000002CFC: 2608009F
	v_lshrrev_b32_e32 v4, 1, v4                                // 000000002D00: 20080881
	v_mul_lo_u32 v21, 34, v4                                   // 000000002D04: D2850015 000208A2
	v_lshrrev_b32_e32 v4, 5, v0                                // 000000002D0C: 20080085
	v_mul_lo_u32 v4, 8, v4                                     // 000000002D10: D2850004 00020888
	v_add_u32_e32 v21, v21, v4                                 // 000000002D18: 682A0915
	v_and_b32_e32 v5, 1, v0                                    // 000000002D1C: 260A0081
	v_add_u32_e32 v21, v5, v21                                 // 000000002D20: 682A2B05
	s_mul_i32 s60, s7, 2                                       // 000000002D24: 923C8207
	v_add_u32_e32 v21, s60, v21                                // 000000002D28: 682A2A3C
	v_lshlrev_b32_e32 v21, 2, v21                              // 000000002D2C: 242A2A82
	s_mul_i32 s60, s7, 0x220                                   // 000000002D30: 923CFF07 00000220
	s_add_u32 s48, 0, s60                                      // 000000002D38: 80303C80
	s_add_u32 s49, 0x880, s48                                  // 000000002D3C: 803130FF 00000880
	s_add_u32 s50, 0x880, s49                                  // 000000002D44: 803231FF 00000880
	v_lshrrev_b32_e32 v4, 4, v0                                // 000000002D4C: 20080084
	v_lshlrev_b32_e32 v5, 2, v4                                // 000000002D50: 240A0882
	v_and_b32_e32 v4, 15, v0                                   // 000000002D54: 2608008F
	v_lshrrev_b32_e32 v6, 2, v4                                // 000000002D58: 200C0882
	v_lshlrev_b32_e32 v6, 5, v6                                // 000000002D5C: 240C0C85
	v_add_u32_e32 v5, v6, v5                                   // 000000002D60: 680A0B06
	v_and_b32_e32 v4, 3, v0                                    // 000000002D64: 26080083
	v_mul_u32_u24_e32 v6, 0x88, v4                             // 000000002D68: 100C08FF 00000088
	v_add_u32_e32 v5, v6, v5                                   // 000000002D70: 680A0B06
	v_lshlrev_b32_e32 v2, 2, v5                                // 000000002D74: 24040A82
	s_waitcnt lgkmcnt(0)                                       // 000000002D78: BF8CC07F
	s_mul_i32 s60, s2, 0x80                                    // 000000002D7C: 923CFF02 00000080
	s_mul_i32 s60, s60, s69                                    // 000000002D84: 923C453C
	s_mul_i32 s61, s5, s72                                     // 000000002D88: 923D4805
	s_add_u32 s60, s61, s60                                    // 000000002D8C: 803C3C3D
	s_add_u32 s24, s60, s24                                    // 000000002D90: 8018183C
	s_addc_u32 s25, 0, s25                                     // 000000002D94: 82191980
	s_lshr_b32 s60, s64, s88                                   // 000000002D98: 8F3C5840
	s_mul_i32 s60, s4, s60                                     // 000000002D9C: 923C3C04
	s_lshr_b32 s60, s60, 7                                     // 000000002DA0: 8F3C873C
	s_mul_i32 s60, s60, 0x800                                  // 000000002DA4: 923CFF3C 00000800
	s_add_u32 s24, s60, s24                                    // 000000002DAC: 8018183C
	s_addc_u32 s25, 0, s25                                     // 000000002DB0: 82191980
	s_lshr_b32 s60, s69, s88                                   // 000000002DB4: 8F3C5845
	s_mul_i32 s60, s4, s60                                     // 000000002DB8: 923C3C04
	s_add_u32 s20, s60, s20                                    // 000000002DBC: 8014143C
	s_addc_u32 s21, 0, s21                                     // 000000002DC0: 82151580
	s_mul_i32 s60, s7, 16                                      // 000000002DC4: 923C9007
	s_mul_i32 s60, s60, s69                                    // 000000002DC8: 923C453C
	v_lshlrev_b32_e32 v36, 4, v0                               // 000000002DCC: 24480084
	v_add_u32_e32 v36, s60, v36                                // 000000002DD0: 6848483C
	s_mul_i32 s60, 64, s69                                     // 000000002DD4: 923C45C0
	v_add_u32_e32 v37, s60, v36                                // 000000002DD8: 684A483C
	s_mov_b32 s84, s24                                         // 000000002DDC: BED40018
	s_mov_b32 s85, s25                                         // 000000002DE0: BED50019
	s_mov_b32 s86, s26                                         // 000000002DE4: BED6001A
	s_mov_b32 s87, s27                                         // 000000002DE8: BED7001B
	s_mul_i32 s60, s69, s65                                    // 000000002DEC: 923C4145
	s_add_u32 s84, s60, s84                                    // 000000002DF0: 8054543C
	s_addc_u32 s85, 0, s85                                     // 000000002DF4: 82555580
	v_lshrrev_b32_e32 v4, 4, v0                                // 000000002DF8: 20080084
	v_lshlrev_b32_e32 v5, 2, v4                                // 000000002DFC: 240A0882
	v_and_b32_e32 v4, 15, v0                                   // 000000002E00: 2608008F
	v_lshrrev_b32_e32 v6, 2, v4                                // 000000002E04: 200C0882
	v_lshlrev_b32_e32 v6, 6, v6                                // 000000002E08: 240C0C86
	v_add_u32_e32 v5, v6, v5                                   // 000000002E0C: 680A0B06
	v_and_b32_e32 v4, 3, v0                                    // 000000002E10: 26080083
	v_add_u32_e32 v5, v4, v5                                   // 000000002E14: 680A0B04
	v_lshlrev_b32_e32 v22, 2, v5                               // 000000002E18: 242C0A82
	s_mul_i32 s60, s7, 16                                      // 000000002E1C: 923C9007
	s_mul_i32 s60, s60, 4                                      // 000000002E20: 923C843C
	v_add_u32_e32 v22, s60, v22                                // 000000002E24: 682C2C3C
	s_mul_i32 s60, s2, 0x80                                    // 000000002E28: 923CFF02 00000080
	s_mul_i32 s60, s60, 4                                      // 000000002E30: 923C843C
	s_mul_i32 s61, s5, s74                                     // 000000002E34: 923D4A05
	s_add_u32 s61, s61, s60                                    // 000000002E38: 803D3C3D
	s_add_u32 s32, s61, s32                                    // 000000002E3C: 8020203D
	s_addc_u32 s33, 0, s33                                     // 000000002E40: 82212180
	s_mov_b32 s57, 0x80                                        // 000000002E44: BEB900FF 00000080
	s_mov_b32 s58, 0x800                                       // 000000002E4C: BEBA00FF 00000800
	s_mov_b32 s83, s58                                         // 000000002E54: BED3003A
	s_mov_b32 s52, 0x7060302                                   // 000000002E58: BEB400FF 07060302
	s_mov_b32 s53, 0x400                                       // 000000002E60: BEB500FF 00000400
	s_mov_b32 s54, 0x40100                                     // 000000002E68: BEB600FF 00040100
	s_mov_b32 s55, 0x4020100                                   // 000000002E70: BEB700FF 04020100
	s_mov_b32 s6, 0x3fb8aa3b                                   // 000000002E78: BE8600FF 3FB8AA3B
	s_mov_b32 s78, 0xbd92220c                                  // 000000002E80: BECE00FF BD92220C
	s_mov_b32 s79, 0xbd92220c                                  // 000000002E88: BECF00FF BD92220C
	s_mov_b32 m0, s48                                          // 000000002E90: BEFC0030
	v_mov_b32_e32 v1, 0xbfcc4231                               // 000000002E94: 7E0202FF BFCC4231
	v_mov_b32_e32 v17, 0xffff0000                              // 000000002E9C: 7E2202FF FFFF0000
	v_mov_b32_e32 v18, 0x7fff0000                              // 000000002EA4: 7E2402FF 7FFF0000
	v_mov_b32_e32 v19, 0x7fff                                  // 000000002EAC: 7E2602FF 00007FFF
	s_waitcnt vmcnt(0) expcnt(0) lgkmcnt(0)                    // 000000002EB4: BF8C0000
	s_mul_i32 s60, s3, 16                                      // 000000002EB8: 923C9003
	s_mul_i32 s60, 4, s60                                      // 000000002EBC: 923C3C84
	s_add_u32 s40, s60, s40                                    // 000000002EC0: 8028283C
	s_addc_u32 s41, 0, s41                                     // 000000002EC4: 82292980
	v_and_b32_e32 v4, 15, v0                                   // 000000002EC8: 2608008F
	v_lshlrev_b32_e32 v4, 2, v4                                // 000000002ECC: 24080882
	buffer_load_dword v56, v4, s[40:43], 0 offen               // 000000002ED0: E0501000 800A3804
	v_lshrrev_b32_e32 v4, 5, v0                                // 000000002ED8: 20080085
	v_xor_b32_e32 v5, 1, v4                                    // 000000002EDC: 2A0A0881
	v_readlane_b32 s82, v3, 0                                  // 000000002EE0: D2890052 00010103
	s_and_b32 s82, s82, 0xffffff                               // 000000002EE8: 8652FF52 00FFFFFF
	v_mul_lo_u32 v6, v5, s82                                   // 000000002EF0: D2850006 0000A505
	v_readlane_b32 s82, v3, 1                                  // 000000002EF8: D2890052 00010303
	s_and_b32 s82, s82, 0xffffff                               // 000000002F00: 8652FF52 00FFFFFF
	v_mul_lo_u32 v7, v4, s82                                   // 000000002F08: D2850007 0000A504
	v_add_u32_e32 v34, v6, v7                                  // 000000002F10: 68440F06
	v_mul_lo_u32 v34, v34, s68                                 // 000000002F14: D2850022 00008922
	v_readlane_b32 s82, v3, 2                                  // 000000002F1C: D2890052 00010503
	s_and_b32 s82, s82, 0xffffff                               // 000000002F24: 8652FF52 00FFFFFF
	v_mul_lo_u32 v6, v5, s82                                   // 000000002F2C: D2850006 0000A505
	v_readlane_b32 s82, v3, 3                                  // 000000002F34: D2890052 00010703
	s_and_b32 s82, s82, 0xffffff                               // 000000002F3C: 8652FF52 00FFFFFF
	v_mul_lo_u32 v7, v4, s82                                   // 000000002F44: D2850007 0000A504
	v_add_u32_e32 v35, v6, v7                                  // 000000002F4C: 68460F06
	v_mul_lo_u32 v35, v35, s68                                 // 000000002F50: D2850023 00008923
	v_and_b32_e32 v4, 31, v0                                   // 000000002F58: 2608009F
	v_lshlrev_b32_e32 v4, 2, v4                                // 000000002F5C: 24080882
	v_add_u32_e32 v34, v34, v4                                 // 000000002F60: 68440922
	v_add_u32_e32 v35, v35, v4                                 // 000000002F64: 68460923
	v_and_b32_e32 v30, 0xffffff, v30                           // 000000002F68: 263C3CFF 00FFFFFF
	v_lshlrev_b32_e32 v30, 2, v30                              // 000000002F70: 243C3C82
	s_lshl_b32 s3, s66, 2                                      // 000000002F74: 8E038242
	buffer_load_dword v31, v30, s[28:31], 0 offen              // 000000002F78: E0501000 80071F1E
	buffer_load_dword v24, v22, s[32:35], 0 offen              // 000000002F80: E0501000 80081816
	s_mul_i32 s60, 4, s65                                      // 000000002F88: 923C4184
	s_add_u32 s32, s60, s32                                    // 000000002F8C: 8020203C
	s_addc_u32 s33, 0, s33                                     // 000000002F90: 82212180
	buffer_load_dword v27, v22, s[32:35], 0 offen              // 000000002F94: E0501000 80081B16
	buffer_load_dword v34, s[20:23], 0 offen lds               // 000000002F9C: E0511000 80050022
	s_add_u32 m0, 0x100, s48                                   // 000000002FA4: 807C30FF 00000100
	buffer_load_dword v35, s[20:23], 0 offen lds               // 000000002FAC: E0511000 80050023
	s_add_u32 m0, 0, s49                                       // 000000002FB4: 807C3180
	s_add_u32 s20, s57, s20                                    // 000000002FB8: 80141439
	s_addc_u32 s21, 0, s21                                     // 000000002FBC: 82151580
	buffer_load_dwordx4 a[16:19], v36, s[24:27], 0 offen       // 000000002FC0: E05C1000 80861024
	buffer_load_dwordx4 a[20:23], v36, s[24:27], 0 offen offset:1024// 000000002FC8: E05C1400 80861424
	buffer_load_dwordx4 a[24:27], v37, s[24:27], 0 offen       // 000000002FD0: E05C1000 80861825
	buffer_load_dwordx4 a[28:31], v37, s[24:27], 0 offen offset:1024// 000000002FD8: E05C1400 80861C25
	s_add_u32 s24, s58, s24                                    // 000000002FE0: 8018183A
	s_addc_u32 s25, 0, s25                                     // 000000002FE4: 82191980
	buffer_load_dword v34, s[20:23], 0 offen lds               // 000000002FE8: E0511000 80050022
	s_add_u32 m0, 0x100, s49                                   // 000000002FF0: 807C31FF 00000100
	buffer_load_dword v35, s[20:23], 0 offen lds               // 000000002FF8: E0511000 80050023
	s_add_u32 m0, 0, s50                                       // 000000003000: 807C3280
	s_add_u32 s20, s57, s20                                    // 000000003004: 80141439
	s_addc_u32 s21, 0, s21                                     // 000000003008: 82151580
	buffer_load_dwordx4 a[32:35], v36, s[84:87], 0 offen       // 00000000300C: E05C1000 80952024
	buffer_load_dwordx4 a[36:39], v36, s[84:87], 0 offen offset:1024// 000000003014: E05C1400 80952424
	buffer_load_dwordx4 a[40:43], v37, s[84:87], 0 offen       // 00000000301C: E05C1000 80952825
	buffer_load_dwordx4 a[44:47], v37, s[84:87], 0 offen offset:1024// 000000003024: E05C1400 80952C25
	s_add_u32 s84, s83, s84                                    // 00000000302C: 80545453
	s_addc_u32 s85, 0, s85                                     // 000000003030: 82555580
	s_waitcnt vmcnt(10)                                        // 000000003034: BF8C0F7A
	s_barrier                                                  // 000000003038: BF8A0000
	ds_read_b128 a[0:3], v2                                    // 00000000303C: DBFE0000 00000002
	ds_read_b128 a[4:7], v2 offset:64                          // 000000003044: DBFE0040 04000002
	s_cmp_lt_i32 s7, 2                                         // 00000000304C: BF048207
	s_cbranch_scc0 label_062F                                  // 000000003050: BF840497

0000000000003054 <label_0195>:
	s_waitcnt vmcnt(6) lgkmcnt(0)                              // 000000003054: BF8C0076
	v_mfma_f32_16x16x32_fp8_fp8 v[40:43], a[16:17], a[0:1], v[40:43]// 000000003058: D3F30028 1CA20110
	v_mfma_f32_16x16x32_fp8_fp8 v[40:43], a[18:19], a[2:3], v[40:43]// 000000003060: D3F30028 1CA20512
	buffer_load_dwordx4 a[48:51], v36, s[24:27], 0 offen       // 000000003068: E05C1000 80863024
	v_mfma_f32_16x16x32_fp8_fp8 v[40:43], a[20:21], a[4:5], v[40:43]// 000000003070: D3F30028 1CA20914
	v_mfma_f32_16x16x32_fp8_fp8 v[40:43], a[22:23], a[6:7], v[40:43]// 000000003078: D3F30028 1CA20D16
	v_mfma_f32_16x16x32_fp8_fp8 v[44:47], a[24:25], a[0:1], v[44:47]// 000000003080: D3F3002C 1CB20118
	v_mfma_f32_16x16x32_fp8_fp8 v[44:47], a[26:27], a[2:3], v[44:47]// 000000003088: D3F3002C 1CB2051A
	buffer_load_dwordx4 a[52:55], v36, s[24:27], 0 offen offset:1024// 000000003090: E05C1400 80863424
	v_mfma_f32_16x16x32_fp8_fp8 v[44:47], a[28:29], a[4:5], v[44:47]// 000000003098: D3F3002C 1CB2091C
	v_mfma_f32_16x16x32_fp8_fp8 v[44:47], a[30:31], a[6:7], v[44:47]// 0000000030A0: D3F3002C 1CB20D1E
	buffer_load_dwordx4 a[56:59], v37, s[24:27], 0 offen       // 0000000030A8: E05C1000 80863825
	buffer_load_dwordx4 a[60:63], v37, s[24:27], 0 offen offset:1024// 0000000030B0: E05C1400 80863C25
	buffer_load_dword v34, s[20:23], 0 offen lds               // 0000000030B8: E0511000 80050022
	s_add_u32 m0, 0x100, s50                                   // 0000000030C0: 807C32FF 00000100
	buffer_load_dword v35, s[20:23], 0 offen lds               // 0000000030C8: E0511000 80050023
	s_add_u32 m0, 0, s48                                       // 0000000030D0: 807C3080
	s_waitcnt vmcnt(6)                                         // 0000000030D4: BF8C0F76
	s_barrier                                                  // 0000000030D8: BF8A0000
	v_mfma_f32_16x16x32_fp8_fp8 v[48:51], a[32:33], a[0:1], v[48:51]// 0000000030DC: D3F30030 1CC20120
	s_add_u32 s60, 0x180, s80                                  // 0000000030E4: 803C50FF 00000180
	s_cmp_lt_u32 s60, s81                                      // 0000000030EC: BF0A513C
	s_cselect_b32 s57, s57, 0                                  // 0000000030F0: 85398039
	v_mfma_f32_16x16x32_fp8_fp8 v[48:51], a[34:35], a[2:3], v[48:51]// 0000000030F4: D3F30030 1CC20522
	buffer_load_dwordx4 a[16:19], v36, s[84:87], 0 offen       // 0000000030FC: E05C1000 80951024
	s_add_u32 s60, 0x100, s80                                  // 000000003104: 803C50FF 00000100
	s_cmp_lt_u32 s60, s81                                      // 00000000310C: BF0A513C
	s_cselect_b32 s58, s58, 0                                  // 000000003110: 853A803A
	v_mfma_f32_16x16x32_fp8_fp8 v[48:51], a[36:37], a[4:5], v[48:51]// 000000003114: D3F30030 1CC20924
	s_add_u32 s60, 0x100, s80                                  // 00000000311C: 803C50FF 00000100
	s_cmp_lt_u32 s60, s81                                      // 000000003124: BF0A513C
	s_cselect_b32 s83, s83, 0                                  // 000000003128: 85538053
	v_mfma_f32_16x16x32_fp8_fp8 v[48:51], a[38:39], a[6:7], v[48:51]// 00000000312C: D3F30030 1CC20D26
	ds_read_b128 a[8:11], v2 offset:2176                       // 000000003134: DBFE0880 08000002
	ds_read_b128 a[12:15], v2 offset:2240                      // 00000000313C: DBFE08C0 0C000002
	s_add_u32 s24, s58, s24                                    // 000000003144: 8018183A
	s_addc_u32 s25, 0, s25                                     // 000000003148: 82191980
	v_mfma_f32_16x16x32_fp8_fp8 v[52:55], a[40:41], a[0:1], v[52:55]// 00000000314C: D3F30034 1CD20128
	s_add_u32 s20, s57, s20                                    // 000000003154: 80141439
	s_addc_u32 s21, 0, s21                                     // 000000003158: 82151580
	v_mfma_f32_16x16x32_fp8_fp8 v[52:55], a[42:43], a[2:3], v[52:55]// 00000000315C: D3F30034 1CD2052A
	buffer_load_dwordx4 a[20:23], v36, s[84:87], 0 offen offset:1024// 000000003164: E05C1400 80951424
	v_mfma_f32_16x16x32_fp8_fp8 v[52:55], a[44:45], a[4:5], v[52:55]// 00000000316C: D3F30034 1CD2092C
	v_mfma_f32_16x16x32_fp8_fp8 v[52:55], a[46:47], a[6:7], v[52:55]// 000000003174: D3F30034 1CD20D2E
	buffer_load_dwordx4 a[24:27], v37, s[84:87], 0 offen       // 00000000317C: E05C1000 80951825
	buffer_load_dwordx4 a[28:31], v37, s[84:87], 0 offen offset:1024// 000000003184: E05C1400 80951C25
	s_add_u32 s84, s83, s84                                    // 00000000318C: 80545453
	s_addc_u32 s85, 0, s85                                     // 000000003190: 82555580
	s_addk_i32 s80, 0x80                                       // 000000003194: B7500080
	s_cmp_lt_i32 s80, s81                                      // 000000003198: BF045150
	s_cbranch_scc0 label_0388                                  // 00000000319C: BF8401A0
	s_waitcnt vmcnt(6) lgkmcnt(0)                              // 0000000031A0: BF8C0076
	v_mfma_f32_16x16x32_fp8_fp8 v[40:43], a[48:49], a[8:9], v[40:43]// 0000000031A4: D3F30028 1CA21130
	v_mfma_f32_16x16x32_fp8_fp8 v[40:43], a[50:51], a[10:11], v[40:43]// 0000000031AC: D3F30028 1CA21532
	buffer_load_dwordx4 a[32:35], v36, s[24:27], 0 offen       // 0000000031B4: E05C1000 80862024
	v_mfma_f32_16x16x32_fp8_fp8 v[40:43], a[52:53], a[12:13], v[40:43]// 0000000031BC: D3F30028 1CA21934
	v_mfma_f32_16x16x32_fp8_fp8 v[40:43], a[54:55], a[14:15], v[40:43]// 0000000031C4: D3F30028 1CA21D36
	v_mfma_f32_16x16x32_fp8_fp8 v[44:47], a[56:57], a[8:9], v[44:47]// 0000000031CC: D3F3002C 1CB21138
	v_mfma_f32_16x16x32_fp8_fp8 v[44:47], a[58:59], a[10:11], v[44:47]// 0000000031D4: D3F3002C 1CB2153A
	buffer_load_dwordx4 a[36:39], v36, s[24:27], 0 offen offset:1024// 0000000031DC: E05C1400 80862424
	v_mfma_f32_16x16x32_fp8_fp8 v[44:47], a[60:61], a[12:13], v[44:47]// 0000000031E4: D3F3002C 1CB2193C
	v_mfma_f32_16x16x32_fp8_fp8 v[44:47], a[62:63], a[14:15], v[44:47]// 0000000031EC: D3F3002C 1CB21D3E
	buffer_load_dwordx4 a[40:43], v37, s[24:27], 0 offen       // 0000000031F4: E05C1000 80862825
	buffer_load_dwordx4 a[44:47], v37, s[24:27], 0 offen offset:1024// 0000000031FC: E05C1400 80862C25
	buffer_load_dword v34, s[20:23], 0 offen lds               // 000000003204: E0511000 80050022
	s_add_u32 m0, 0x100, s48                                   // 00000000320C: 807C30FF 00000100
	buffer_load_dword v35, s[20:23], 0 offen lds               // 000000003214: E0511000 80050023
	s_add_u32 m0, 0, s49                                       // 00000000321C: 807C3180
	s_waitcnt vmcnt(6)                                         // 000000003220: BF8C0F76
	s_barrier                                                  // 000000003224: BF8A0000
	v_mfma_f32_16x16x32_fp8_fp8 v[48:51], a[16:17], a[8:9], v[48:51]// 000000003228: D3F30030 1CC21110
	s_add_u32 s60, 0x180, s80                                  // 000000003230: 803C50FF 00000180
	s_cmp_lt_u32 s60, s81                                      // 000000003238: BF0A513C
	s_cselect_b32 s57, s57, 0                                  // 00000000323C: 85398039
	v_mfma_f32_16x16x32_fp8_fp8 v[48:51], a[18:19], a[10:11], v[48:51]// 000000003240: D3F30030 1CC21512
	buffer_load_dwordx4 a[48:51], v36, s[84:87], 0 offen       // 000000003248: E05C1000 80953024
	s_add_u32 s60, 0x100, s80                                  // 000000003250: 803C50FF 00000100
	s_cmp_lt_u32 s60, s81                                      // 000000003258: BF0A513C
	s_cselect_b32 s58, s58, 0                                  // 00000000325C: 853A803A
	v_mfma_f32_16x16x32_fp8_fp8 v[48:51], a[20:21], a[12:13], v[48:51]// 000000003260: D3F30030 1CC21914
	s_add_u32 s60, 0x100, s80                                  // 000000003268: 803C50FF 00000100
	s_cmp_lt_u32 s60, s81                                      // 000000003270: BF0A513C
	s_cselect_b32 s83, s83, 0                                  // 000000003274: 85538053
	v_mfma_f32_16x16x32_fp8_fp8 v[48:51], a[22:23], a[14:15], v[48:51]// 000000003278: D3F30030 1CC21D16
	ds_read_b128 a[0:3], v2 offset:4352                        // 000000003280: DBFE1100 00000002
	ds_read_b128 a[4:7], v2 offset:4416                        // 000000003288: DBFE1140 04000002
	s_add_u32 s24, s58, s24                                    // 000000003290: 8018183A
	s_addc_u32 s25, 0, s25                                     // 000000003294: 82191980
	v_mfma_f32_16x16x32_fp8_fp8 v[52:55], a[24:25], a[8:9], v[52:55]// 000000003298: D3F30034 1CD21118
	s_add_u32 s20, s57, s20                                    // 0000000032A0: 80141439
	s_addc_u32 s21, 0, s21                                     // 0000000032A4: 82151580
	v_mfma_f32_16x16x32_fp8_fp8 v[52:55], a[26:27], a[10:11], v[52:55]// 0000000032A8: D3F30034 1CD2151A
	buffer_load_dwordx4 a[52:55], v36, s[84:87], 0 offen offset:1024// 0000000032B0: E05C1400 80953424
	v_mfma_f32_16x16x32_fp8_fp8 v[52:55], a[28:29], a[12:13], v[52:55]// 0000000032B8: D3F30034 1CD2191C
	v_mfma_f32_16x16x32_fp8_fp8 v[52:55], a[30:31], a[14:15], v[52:55]// 0000000032C0: D3F30034 1CD21D1E
	buffer_load_dwordx4 a[56:59], v37, s[84:87], 0 offen       // 0000000032C8: E05C1000 80953825
	buffer_load_dwordx4 a[60:63], v37, s[84:87], 0 offen offset:1024// 0000000032D0: E05C1400 80953C25
	s_add_u32 s84, s83, s84                                    // 0000000032D8: 80545453
	s_addc_u32 s85, 0, s85                                     // 0000000032DC: 82555580
	s_addk_i32 s80, 0x80                                       // 0000000032E0: B7500080
	s_cmp_lt_i32 s80, s81                                      // 0000000032E4: BF045150
	s_cbranch_scc0 label_0388                                  // 0000000032E8: BF84014D
	s_waitcnt vmcnt(6) lgkmcnt(0)                              // 0000000032EC: BF8C0076
	v_mfma_f32_16x16x32_fp8_fp8 v[40:43], a[32:33], a[0:1], v[40:43]// 0000000032F0: D3F30028 1CA20120
	v_mfma_f32_16x16x32_fp8_fp8 v[40:43], a[34:35], a[2:3], v[40:43]// 0000000032F8: D3F30028 1CA20522
	buffer_load_dwordx4 a[16:19], v36, s[24:27], 0 offen       // 000000003300: E05C1000 80861024
	v_mfma_f32_16x16x32_fp8_fp8 v[40:43], a[36:37], a[4:5], v[40:43]// 000000003308: D3F30028 1CA20924
	v_mfma_f32_16x16x32_fp8_fp8 v[40:43], a[38:39], a[6:7], v[40:43]// 000000003310: D3F30028 1CA20D26
	v_mfma_f32_16x16x32_fp8_fp8 v[44:47], a[40:41], a[0:1], v[44:47]// 000000003318: D3F3002C 1CB20128
	v_mfma_f32_16x16x32_fp8_fp8 v[44:47], a[42:43], a[2:3], v[44:47]// 000000003320: D3F3002C 1CB2052A
	buffer_load_dwordx4 a[20:23], v36, s[24:27], 0 offen offset:1024// 000000003328: E05C1400 80861424
	v_mfma_f32_16x16x32_fp8_fp8 v[44:47], a[44:45], a[4:5], v[44:47]// 000000003330: D3F3002C 1CB2092C
	v_mfma_f32_16x16x32_fp8_fp8 v[44:47], a[46:47], a[6:7], v[44:47]// 000000003338: D3F3002C 1CB20D2E
	buffer_load_dwordx4 a[24:27], v37, s[24:27], 0 offen       // 000000003340: E05C1000 80861825
	buffer_load_dwordx4 a[28:31], v37, s[24:27], 0 offen offset:1024// 000000003348: E05C1400 80861C25
	buffer_load_dword v34, s[20:23], 0 offen lds               // 000000003350: E0511000 80050022
	s_add_u32 m0, 0x100, s49                                   // 000000003358: 807C31FF 00000100
	buffer_load_dword v35, s[20:23], 0 offen lds               // 000000003360: E0511000 80050023
	s_add_u32 m0, 0, s50                                       // 000000003368: 807C3280
	s_waitcnt vmcnt(6)                                         // 00000000336C: BF8C0F76
	s_barrier                                                  // 000000003370: BF8A0000
	v_mfma_f32_16x16x32_fp8_fp8 v[48:51], a[48:49], a[0:1], v[48:51]// 000000003374: D3F30030 1CC20130
	s_add_u32 s60, 0x180, s80                                  // 00000000337C: 803C50FF 00000180
	s_cmp_lt_u32 s60, s81                                      // 000000003384: BF0A513C
	s_cselect_b32 s57, s57, 0                                  // 000000003388: 85398039
	v_mfma_f32_16x16x32_fp8_fp8 v[48:51], a[50:51], a[2:3], v[48:51]// 00000000338C: D3F30030 1CC20532
	buffer_load_dwordx4 a[32:35], v36, s[84:87], 0 offen       // 000000003394: E05C1000 80952024
	s_add_u32 s60, 0x100, s80                                  // 00000000339C: 803C50FF 00000100
	s_cmp_lt_u32 s60, s81                                      // 0000000033A4: BF0A513C
	s_cselect_b32 s58, s58, 0                                  // 0000000033A8: 853A803A
	v_mfma_f32_16x16x32_fp8_fp8 v[48:51], a[52:53], a[4:5], v[48:51]// 0000000033AC: D3F30030 1CC20934
	s_add_u32 s60, 0x100, s80                                  // 0000000033B4: 803C50FF 00000100
	s_cmp_lt_u32 s60, s81                                      // 0000000033BC: BF0A513C
	s_cselect_b32 s83, s83, 0                                  // 0000000033C0: 85538053
	v_mfma_f32_16x16x32_fp8_fp8 v[48:51], a[54:55], a[6:7], v[48:51]// 0000000033C4: D3F30030 1CC20D36
	ds_read_b128 a[8:11], v2                                   // 0000000033CC: DBFE0000 08000002
	ds_read_b128 a[12:15], v2 offset:64                        // 0000000033D4: DBFE0040 0C000002
	s_add_u32 s24, s58, s24                                    // 0000000033DC: 8018183A
	s_addc_u32 s25, 0, s25                                     // 0000000033E0: 82191980
	v_mfma_f32_16x16x32_fp8_fp8 v[52:55], a[56:57], a[0:1], v[52:55]// 0000000033E4: D3F30034 1CD20138
	s_add_u32 s20, s57, s20                                    // 0000000033EC: 80141439
	s_addc_u32 s21, 0, s21                                     // 0000000033F0: 82151580
	v_mfma_f32_16x16x32_fp8_fp8 v[52:55], a[58:59], a[2:3], v[52:55]// 0000000033F4: D3F30034 1CD2053A
	buffer_load_dwordx4 a[36:39], v36, s[84:87], 0 offen offset:1024// 0000000033FC: E05C1400 80952424
	v_mfma_f32_16x16x32_fp8_fp8 v[52:55], a[60:61], a[4:5], v[52:55]// 000000003404: D3F30034 1CD2093C
	v_mfma_f32_16x16x32_fp8_fp8 v[52:55], a[62:63], a[6:7], v[52:55]// 00000000340C: D3F30034 1CD20D3E
	buffer_load_dwordx4 a[40:43], v37, s[84:87], 0 offen       // 000000003414: E05C1000 80952825
	buffer_load_dwordx4 a[44:47], v37, s[84:87], 0 offen offset:1024// 00000000341C: E05C1400 80952C25
	s_add_u32 s84, s83, s84                                    // 000000003424: 80545453
	s_addc_u32 s85, 0, s85                                     // 000000003428: 82555580
	s_addk_i32 s80, 0x80                                       // 00000000342C: B7500080
	s_cmp_lt_i32 s80, s81                                      // 000000003430: BF045150
	s_cbranch_scc0 label_0388                                  // 000000003434: BF8400FA
	s_waitcnt vmcnt(6) lgkmcnt(0)                              // 000000003438: BF8C0076
	v_mfma_f32_16x16x32_fp8_fp8 v[40:43], a[16:17], a[8:9], v[40:43]// 00000000343C: D3F30028 1CA21110
	v_mfma_f32_16x16x32_fp8_fp8 v[40:43], a[18:19], a[10:11], v[40:43]// 000000003444: D3F30028 1CA21512
	buffer_load_dwordx4 a[48:51], v36, s[24:27], 0 offen       // 00000000344C: E05C1000 80863024
	v_mfma_f32_16x16x32_fp8_fp8 v[40:43], a[20:21], a[12:13], v[40:43]// 000000003454: D3F30028 1CA21914
	v_mfma_f32_16x16x32_fp8_fp8 v[40:43], a[22:23], a[14:15], v[40:43]// 00000000345C: D3F30028 1CA21D16
	v_mfma_f32_16x16x32_fp8_fp8 v[44:47], a[24:25], a[8:9], v[44:47]// 000000003464: D3F3002C 1CB21118
	v_mfma_f32_16x16x32_fp8_fp8 v[44:47], a[26:27], a[10:11], v[44:47]// 00000000346C: D3F3002C 1CB2151A
	buffer_load_dwordx4 a[52:55], v36, s[24:27], 0 offen offset:1024// 000000003474: E05C1400 80863424
	v_mfma_f32_16x16x32_fp8_fp8 v[44:47], a[28:29], a[12:13], v[44:47]// 00000000347C: D3F3002C 1CB2191C
	v_mfma_f32_16x16x32_fp8_fp8 v[44:47], a[30:31], a[14:15], v[44:47]// 000000003484: D3F3002C 1CB21D1E
	buffer_load_dwordx4 a[56:59], v37, s[24:27], 0 offen       // 00000000348C: E05C1000 80863825
	buffer_load_dwordx4 a[60:63], v37, s[24:27], 0 offen offset:1024// 000000003494: E05C1400 80863C25
	buffer_load_dword v34, s[20:23], 0 offen lds               // 00000000349C: E0511000 80050022
	s_add_u32 m0, 0x100, s50                                   // 0000000034A4: 807C32FF 00000100
	buffer_load_dword v35, s[20:23], 0 offen lds               // 0000000034AC: E0511000 80050023
	s_add_u32 m0, 0, s48                                       // 0000000034B4: 807C3080
	s_waitcnt vmcnt(6)                                         // 0000000034B8: BF8C0F76
	s_barrier                                                  // 0000000034BC: BF8A0000
	v_mfma_f32_16x16x32_fp8_fp8 v[48:51], a[32:33], a[8:9], v[48:51]// 0000000034C0: D3F30030 1CC21120
	s_add_u32 s60, 0x180, s80                                  // 0000000034C8: 803C50FF 00000180
	s_cmp_lt_u32 s60, s81                                      // 0000000034D0: BF0A513C
	s_cselect_b32 s57, s57, 0                                  // 0000000034D4: 85398039
	v_mfma_f32_16x16x32_fp8_fp8 v[48:51], a[34:35], a[10:11], v[48:51]// 0000000034D8: D3F30030 1CC21522
	buffer_load_dwordx4 a[16:19], v36, s[84:87], 0 offen       // 0000000034E0: E05C1000 80951024
	s_add_u32 s60, 0x100, s80                                  // 0000000034E8: 803C50FF 00000100
	s_cmp_lt_u32 s60, s81                                      // 0000000034F0: BF0A513C
	s_cselect_b32 s58, s58, 0                                  // 0000000034F4: 853A803A
	v_mfma_f32_16x16x32_fp8_fp8 v[48:51], a[36:37], a[12:13], v[48:51]// 0000000034F8: D3F30030 1CC21924
	s_add_u32 s60, 0x100, s80                                  // 000000003500: 803C50FF 00000100
	s_cmp_lt_u32 s60, s81                                      // 000000003508: BF0A513C
	s_cselect_b32 s83, s83, 0                                  // 00000000350C: 85538053
	v_mfma_f32_16x16x32_fp8_fp8 v[48:51], a[38:39], a[14:15], v[48:51]// 000000003510: D3F30030 1CC21D26
	ds_read_b128 a[0:3], v2 offset:2176                        // 000000003518: DBFE0880 00000002
	ds_read_b128 a[4:7], v2 offset:2240                        // 000000003520: DBFE08C0 04000002
	s_add_u32 s24, s58, s24                                    // 000000003528: 8018183A
	s_addc_u32 s25, 0, s25                                     // 00000000352C: 82191980
	v_mfma_f32_16x16x32_fp8_fp8 v[52:55], a[40:41], a[8:9], v[52:55]// 000000003530: D3F30034 1CD21128
	s_add_u32 s20, s57, s20                                    // 000000003538: 80141439
	s_addc_u32 s21, 0, s21                                     // 00000000353C: 82151580
	v_mfma_f32_16x16x32_fp8_fp8 v[52:55], a[42:43], a[10:11], v[52:55]// 000000003540: D3F30034 1CD2152A
	buffer_load_dwordx4 a[20:23], v36, s[84:87], 0 offen offset:1024// 000000003548: E05C1400 80951424
	v_mfma_f32_16x16x32_fp8_fp8 v[52:55], a[44:45], a[12:13], v[52:55]// 000000003550: D3F30034 1CD2192C
	v_mfma_f32_16x16x32_fp8_fp8 v[52:55], a[46:47], a[14:15], v[52:55]// 000000003558: D3F30034 1CD21D2E
	buffer_load_dwordx4 a[24:27], v37, s[84:87], 0 offen       // 000000003560: E05C1000 80951825
	buffer_load_dwordx4 a[28:31], v37, s[84:87], 0 offen offset:1024// 000000003568: E05C1400 80951C25
	s_add_u32 s84, s83, s84                                    // 000000003570: 80545453
	s_addc_u32 s85, 0, s85                                     // 000000003574: 82555580
	s_addk_i32 s80, 0x80                                       // 000000003578: B7500080
	s_cmp_lt_i32 s80, s81                                      // 00000000357C: BF045150
	s_cbranch_scc0 label_0388                                  // 000000003580: BF8400A7
	s_waitcnt vmcnt(6) lgkmcnt(0)                              // 000000003584: BF8C0076
	v_mfma_f32_16x16x32_fp8_fp8 v[40:43], a[48:49], a[0:1], v[40:43]// 000000003588: D3F30028 1CA20130
	v_mfma_f32_16x16x32_fp8_fp8 v[40:43], a[50:51], a[2:3], v[40:43]// 000000003590: D3F30028 1CA20532
	buffer_load_dwordx4 a[32:35], v36, s[24:27], 0 offen       // 000000003598: E05C1000 80862024
	v_mfma_f32_16x16x32_fp8_fp8 v[40:43], a[52:53], a[4:5], v[40:43]// 0000000035A0: D3F30028 1CA20934
	v_mfma_f32_16x16x32_fp8_fp8 v[40:43], a[54:55], a[6:7], v[40:43]// 0000000035A8: D3F30028 1CA20D36
	v_mfma_f32_16x16x32_fp8_fp8 v[44:47], a[56:57], a[0:1], v[44:47]// 0000000035B0: D3F3002C 1CB20138
	v_mfma_f32_16x16x32_fp8_fp8 v[44:47], a[58:59], a[2:3], v[44:47]// 0000000035B8: D3F3002C 1CB2053A
	buffer_load_dwordx4 a[36:39], v36, s[24:27], 0 offen offset:1024// 0000000035C0: E05C1400 80862424
	v_mfma_f32_16x16x32_fp8_fp8 v[44:47], a[60:61], a[4:5], v[44:47]// 0000000035C8: D3F3002C 1CB2093C
	v_mfma_f32_16x16x32_fp8_fp8 v[44:47], a[62:63], a[6:7], v[44:47]// 0000000035D0: D3F3002C 1CB20D3E
	buffer_load_dwordx4 a[40:43], v37, s[24:27], 0 offen       // 0000000035D8: E05C1000 80862825
	buffer_load_dwordx4 a[44:47], v37, s[24:27], 0 offen offset:1024// 0000000035E0: E05C1400 80862C25
	buffer_load_dword v34, s[20:23], 0 offen lds               // 0000000035E8: E0511000 80050022
	s_add_u32 m0, 0x100, s48                                   // 0000000035F0: 807C30FF 00000100
	buffer_load_dword v35, s[20:23], 0 offen lds               // 0000000035F8: E0511000 80050023
	s_add_u32 m0, 0, s49                                       // 000000003600: 807C3180
	s_waitcnt vmcnt(6)                                         // 000000003604: BF8C0F76
	s_barrier                                                  // 000000003608: BF8A0000
	v_mfma_f32_16x16x32_fp8_fp8 v[48:51], a[16:17], a[0:1], v[48:51]// 00000000360C: D3F30030 1CC20110
	s_add_u32 s60, 0x180, s80                                  // 000000003614: 803C50FF 00000180
	s_cmp_lt_u32 s60, s81                                      // 00000000361C: BF0A513C
	s_cselect_b32 s57, s57, 0                                  // 000000003620: 85398039
	v_mfma_f32_16x16x32_fp8_fp8 v[48:51], a[18:19], a[2:3], v[48:51]// 000000003624: D3F30030 1CC20512
	buffer_load_dwordx4 a[48:51], v36, s[84:87], 0 offen       // 00000000362C: E05C1000 80953024
	s_add_u32 s60, 0x100, s80                                  // 000000003634: 803C50FF 00000100
	s_cmp_lt_u32 s60, s81                                      // 00000000363C: BF0A513C
	s_cselect_b32 s58, s58, 0                                  // 000000003640: 853A803A
	v_mfma_f32_16x16x32_fp8_fp8 v[48:51], a[20:21], a[4:5], v[48:51]// 000000003644: D3F30030 1CC20914
	s_add_u32 s60, 0x100, s80                                  // 00000000364C: 803C50FF 00000100
	s_cmp_lt_u32 s60, s81                                      // 000000003654: BF0A513C
	s_cselect_b32 s83, s83, 0                                  // 000000003658: 85538053
	v_mfma_f32_16x16x32_fp8_fp8 v[48:51], a[22:23], a[6:7], v[48:51]// 00000000365C: D3F30030 1CC20D16
	ds_read_b128 a[8:11], v2 offset:4352                       // 000000003664: DBFE1100 08000002
	ds_read_b128 a[12:15], v2 offset:4416                      // 00000000366C: DBFE1140 0C000002
	s_add_u32 s24, s58, s24                                    // 000000003674: 8018183A
	s_addc_u32 s25, 0, s25                                     // 000000003678: 82191980
	v_mfma_f32_16x16x32_fp8_fp8 v[52:55], a[24:25], a[0:1], v[52:55]// 00000000367C: D3F30034 1CD20118
	s_add_u32 s20, s57, s20                                    // 000000003684: 80141439
	s_addc_u32 s21, 0, s21                                     // 000000003688: 82151580
	v_mfma_f32_16x16x32_fp8_fp8 v[52:55], a[26:27], a[2:3], v[52:55]// 00000000368C: D3F30034 1CD2051A
	buffer_load_dwordx4 a[52:55], v36, s[84:87], 0 offen offset:1024// 000000003694: E05C1400 80953424
	v_mfma_f32_16x16x32_fp8_fp8 v[52:55], a[28:29], a[4:5], v[52:55]// 00000000369C: D3F30034 1CD2091C
	v_mfma_f32_16x16x32_fp8_fp8 v[52:55], a[30:31], a[6:7], v[52:55]// 0000000036A4: D3F30034 1CD20D1E
	buffer_load_dwordx4 a[56:59], v37, s[84:87], 0 offen       // 0000000036AC: E05C1000 80953825
	buffer_load_dwordx4 a[60:63], v37, s[84:87], 0 offen offset:1024// 0000000036B4: E05C1400 80953C25
	s_add_u32 s84, s83, s84                                    // 0000000036BC: 80545453
	s_addc_u32 s85, 0, s85                                     // 0000000036C0: 82555580
	s_addk_i32 s80, 0x80                                       // 0000000036C4: B7500080
	s_cmp_lt_i32 s80, s81                                      // 0000000036C8: BF045150
	s_cbranch_scc0 label_0388                                  // 0000000036CC: BF840054
	s_waitcnt vmcnt(6) lgkmcnt(0)                              // 0000000036D0: BF8C0076
	v_mfma_f32_16x16x32_fp8_fp8 v[40:43], a[32:33], a[8:9], v[40:43]// 0000000036D4: D3F30028 1CA21120
	v_mfma_f32_16x16x32_fp8_fp8 v[40:43], a[34:35], a[10:11], v[40:43]// 0000000036DC: D3F30028 1CA21522
	buffer_load_dwordx4 a[16:19], v36, s[24:27], 0 offen       // 0000000036E4: E05C1000 80861024
	v_mfma_f32_16x16x32_fp8_fp8 v[40:43], a[36:37], a[12:13], v[40:43]// 0000000036EC: D3F30028 1CA21924
	v_mfma_f32_16x16x32_fp8_fp8 v[40:43], a[38:39], a[14:15], v[40:43]// 0000000036F4: D3F30028 1CA21D26
	v_mfma_f32_16x16x32_fp8_fp8 v[44:47], a[40:41], a[8:9], v[44:47]// 0000000036FC: D3F3002C 1CB21128
	v_mfma_f32_16x16x32_fp8_fp8 v[44:47], a[42:43], a[10:11], v[44:47]// 000000003704: D3F3002C 1CB2152A
	buffer_load_dwordx4 a[20:23], v36, s[24:27], 0 offen offset:1024// 00000000370C: E05C1400 80861424
	v_mfma_f32_16x16x32_fp8_fp8 v[44:47], a[44:45], a[12:13], v[44:47]// 000000003714: D3F3002C 1CB2192C
	v_mfma_f32_16x16x32_fp8_fp8 v[44:47], a[46:47], a[14:15], v[44:47]// 00000000371C: D3F3002C 1CB21D2E
	buffer_load_dwordx4 a[24:27], v37, s[24:27], 0 offen       // 000000003724: E05C1000 80861825
	buffer_load_dwordx4 a[28:31], v37, s[24:27], 0 offen offset:1024// 00000000372C: E05C1400 80861C25
	buffer_load_dword v34, s[20:23], 0 offen lds               // 000000003734: E0511000 80050022
	s_add_u32 m0, 0x100, s49                                   // 00000000373C: 807C31FF 00000100
	buffer_load_dword v35, s[20:23], 0 offen lds               // 000000003744: E0511000 80050023
	s_add_u32 m0, 0, s50                                       // 00000000374C: 807C3280
	s_waitcnt vmcnt(6)                                         // 000000003750: BF8C0F76
	s_barrier                                                  // 000000003754: BF8A0000
	v_mfma_f32_16x16x32_fp8_fp8 v[48:51], a[48:49], a[8:9], v[48:51]// 000000003758: D3F30030 1CC21130
	s_add_u32 s60, 0x180, s80                                  // 000000003760: 803C50FF 00000180
	s_cmp_lt_u32 s60, s81                                      // 000000003768: BF0A513C
	s_cselect_b32 s57, s57, 0                                  // 00000000376C: 85398039
	v_mfma_f32_16x16x32_fp8_fp8 v[48:51], a[50:51], a[10:11], v[48:51]// 000000003770: D3F30030 1CC21532
	buffer_load_dwordx4 a[32:35], v36, s[84:87], 0 offen       // 000000003778: E05C1000 80952024
	s_add_u32 s60, 0x100, s80                                  // 000000003780: 803C50FF 00000100
	s_cmp_lt_u32 s60, s81                                      // 000000003788: BF0A513C
	s_cselect_b32 s58, s58, 0                                  // 00000000378C: 853A803A
	v_mfma_f32_16x16x32_fp8_fp8 v[48:51], a[52:53], a[12:13], v[48:51]// 000000003790: D3F30030 1CC21934
	s_add_u32 s60, 0x100, s80                                  // 000000003798: 803C50FF 00000100
	s_cmp_lt_u32 s60, s81                                      // 0000000037A0: BF0A513C
	s_cselect_b32 s83, s83, 0                                  // 0000000037A4: 85538053
	v_mfma_f32_16x16x32_fp8_fp8 v[48:51], a[54:55], a[14:15], v[48:51]// 0000000037A8: D3F30030 1CC21D36
	ds_read_b128 a[0:3], v2                                    // 0000000037B0: DBFE0000 00000002
	ds_read_b128 a[4:7], v2 offset:64                          // 0000000037B8: DBFE0040 04000002
	s_add_u32 s24, s58, s24                                    // 0000000037C0: 8018183A
	s_addc_u32 s25, 0, s25                                     // 0000000037C4: 82191980
	v_mfma_f32_16x16x32_fp8_fp8 v[52:55], a[56:57], a[8:9], v[52:55]// 0000000037C8: D3F30034 1CD21138
	s_add_u32 s20, s57, s20                                    // 0000000037D0: 80141439
	s_addc_u32 s21, 0, s21                                     // 0000000037D4: 82151580
	v_mfma_f32_16x16x32_fp8_fp8 v[52:55], a[58:59], a[10:11], v[52:55]// 0000000037D8: D3F30034 1CD2153A
	buffer_load_dwordx4 a[36:39], v36, s[84:87], 0 offen offset:1024// 0000000037E0: E05C1400 80952424
	v_mfma_f32_16x16x32_fp8_fp8 v[52:55], a[60:61], a[12:13], v[52:55]// 0000000037E8: D3F30034 1CD2193C
	v_mfma_f32_16x16x32_fp8_fp8 v[52:55], a[62:63], a[14:15], v[52:55]// 0000000037F0: D3F30034 1CD21D3E
	buffer_load_dwordx4 a[40:43], v37, s[84:87], 0 offen       // 0000000037F8: E05C1000 80952825
	buffer_load_dwordx4 a[44:47], v37, s[84:87], 0 offen offset:1024// 000000003800: E05C1400 80952C25
	s_add_u32 s84, s83, s84                                    // 000000003808: 80545453
	s_addc_u32 s85, 0, s85                                     // 00000000380C: 82555580
	s_addk_i32 s80, 0x80                                       // 000000003810: B7500080
	s_cmp_lt_i32 s80, s81                                      // 000000003814: BF045150
	s_cbranch_scc0 label_0388                                  // 000000003818: BF840001
	s_branch label_0195                                        // 00000000381C: BF82FE0D

0000000000003820 <label_0388>:
	v_mul_f32_dpp v40, v24, v40 row_newbcast:0 row_mask:0xf bank_mask:0xf// 000000003820: 0A5050FA FF015018
	v_mul_f32_dpp v41, v24, v41 row_newbcast:1 row_mask:0xf bank_mask:0xf// 000000003828: 0A5252FA FF015118
	v_mul_f32_dpp v42, v24, v42 row_newbcast:2 row_mask:0xf bank_mask:0xf// 000000003830: 0A5454FA FF015218
	v_mul_f32_dpp v43, v24, v43 row_newbcast:3 row_mask:0xf bank_mask:0xf// 000000003838: 0A5656FA FF015318
	v_mul_f32_dpp v44, v24, v44 row_newbcast:4 row_mask:0xf bank_mask:0xf// 000000003840: 0A5858FA FF015418
	v_mul_f32_dpp v45, v24, v45 row_newbcast:5 row_mask:0xf bank_mask:0xf// 000000003848: 0A5A5AFA FF015518
	v_mul_f32_dpp v46, v24, v46 row_newbcast:6 row_mask:0xf bank_mask:0xf// 000000003850: 0A5C5CFA FF015618
	v_mul_f32_dpp v47, v24, v47 row_newbcast:7 row_mask:0xf bank_mask:0xf// 000000003858: 0A5E5EFA FF015718
	v_mul_f32_dpp v48, v27, v48 row_newbcast:0 row_mask:0xf bank_mask:0xf// 000000003860: 0A6060FA FF01501B
	v_mul_f32_dpp v49, v27, v49 row_newbcast:1 row_mask:0xf bank_mask:0xf// 000000003868: 0A6262FA FF01511B
	v_mul_f32_dpp v50, v27, v50 row_newbcast:2 row_mask:0xf bank_mask:0xf// 000000003870: 0A6464FA FF01521B
	v_mul_f32_dpp v51, v27, v51 row_newbcast:3 row_mask:0xf bank_mask:0xf// 000000003878: 0A6666FA FF01531B
	v_mul_f32_dpp v52, v27, v52 row_newbcast:4 row_mask:0xf bank_mask:0xf// 000000003880: 0A6868FA FF01541B
	v_mul_f32_dpp v53, v27, v53 row_newbcast:5 row_mask:0xf bank_mask:0xf// 000000003888: 0A6A6AFA FF01551B
	v_mul_f32_dpp v54, v27, v54 row_newbcast:6 row_mask:0xf bank_mask:0xf// 000000003890: 0A6C6CFA FF01561B
	v_mul_f32_dpp v55, v27, v55 row_newbcast:7 row_mask:0xf bank_mask:0xf// 000000003898: 0A6E6EFA FF01571B
	v_mul_f32_e32 v31, v31, v56                                // 0000000038A0: 0A3E711F
	v_mov_b32_e32 v4, v31                                      // 0000000038A4: 7E08031F
	v_mov_b32_e32 v5, v4                                       // 0000000038A8: 7E0A0304
	v_pk_mul_f32 v[40:41], v[4:5], v[40:41]                    // 0000000038AC: D3B14028 18025104
	v_pk_mul_f32 v[48:49], v[4:5], v[48:49]                    // 0000000038B4: D3B14030 18026104
	v_pk_mul_f32 v[42:43], v[4:5], v[42:43]                    // 0000000038BC: D3B1402A 18025504
	v_pk_mul_f32 v[50:51], v[4:5], v[50:51]                    // 0000000038C4: D3B14032 18026504
	v_pk_mul_f32 v[44:45], v[4:5], v[44:45]                    // 0000000038CC: D3B1402C 18025904
	v_pk_mul_f32 v[52:53], v[4:5], v[52:53]                    // 0000000038D4: D3B14034 18026904
	v_pk_mul_f32 v[46:47], v[4:5], v[46:47]                    // 0000000038DC: D3B1402E 18025D04
	v_pk_mul_f32 v[54:55], v[4:5], v[54:55]                    // 0000000038E4: D3B14036 18026D04
	s_cmp_eq_u32 s88, 0                                        // 0000000038EC: BF068058
	s_cbranch_scc0 label_0506                                  // 0000000038F0: BF840149
	s_cmp_eq_u32 s89, 0                                        // 0000000038F4: BF068059
	s_cbranch_scc1 label_0414                                  // 0000000038F8: BF850055
	v_mov_b32_e32 v8, v1                                       // 0000000038FC: 7E100301
	v_mov_b32_e32 v9, v1                                       // 000000003900: 7E120301
	s_mov_b32 s60, s6                                          // 000000003904: BEBC0006
	s_mov_b32 s61, s6                                          // 000000003908: BEBD0006
	v_pk_mul_f32 v[4:5], v[40:41], v[40:41]                    // 00000000390C: D3B14004 18025128
	v_pk_mul_f32 v[6:7], v[42:43], v[42:43]                    // 000000003914: D3B14006 1802552A
	v_pk_fma_f32 v[4:5], v[4:5], s[78:79], v[8:9]              // 00000000391C: D3B04004 1C209D04
	v_pk_fma_f32 v[6:7], v[6:7], s[78:79], v[8:9]              // 000000003924: D3B04006 1C209D06
	v_pk_mul_f32 v[4:5], v[4:5], v[40:41]                      // 00000000392C: D3B14004 18025104
	v_pk_mul_f32 v[6:7], v[6:7], v[42:43]                      // 000000003934: D3B14006 18025506
	v_pk_mul_f32 v[4:5], v[4:5], s[60:61]                      // 00000000393C: D3B14004 18007904
	v_pk_mul_f32 v[6:7], v[6:7], s[60:61]                      // 000000003944: D3B14006 18007906
	v_exp_f32_e32 v4, v4                                       // 00000000394C: 7E084104
	v_exp_f32_e32 v5, v5                                       // 000000003950: 7E0A4105
	v_exp_f32_e32 v6, v6                                       // 000000003954: 7E0C4106
	v_exp_f32_e32 v7, v7                                       // 000000003958: 7E0E4107
	v_add_f32_e64 v4, v4, 1.0                                  // 00000000395C: D1010004 0001E504
	v_add_f32_e64 v5, v5, 1.0                                  // 000000003964: D1010005 0001E505
	v_add_f32_e64 v6, v6, 1.0                                  // 00000000396C: D1010006 0001E506
	v_add_f32_e64 v7, v7, 1.0                                  // 000000003974: D1010007 0001E507
	v_rcp_f32_e32 v4, v4                                       // 00000000397C: 7E084504
	v_rcp_f32_e32 v5, v5                                       // 000000003980: 7E0A4505
	v_rcp_f32_e32 v6, v6                                       // 000000003984: 7E0C4506
	v_rcp_f32_e32 v7, v7                                       // 000000003988: 7E0E4507
	v_mul_f32_e32 v40, v40, v4                                 // 00000000398C: 0A500928
	v_mul_f32_e32 v41, v41, v5                                 // 000000003990: 0A520B29
	v_mul_f32_e32 v42, v42, v6                                 // 000000003994: 0A540D2A
	v_mul_f32_e32 v43, v43, v7                                 // 000000003998: 0A560F2B
	v_mul_f32_e32 v40, v40, v48                                // 00000000399C: 0A506128
	v_mul_f32_e32 v41, v41, v49                                // 0000000039A0: 0A526329
	v_mul_f32_e32 v42, v42, v50                                // 0000000039A4: 0A54652A
	v_mul_f32_e32 v43, v43, v51                                // 0000000039A8: 0A56672B
	v_pk_mul_f32 v[4:5], v[44:45], v[44:45]                    // 0000000039AC: D3B14004 1802592C
	v_pk_mul_f32 v[6:7], v[46:47], v[46:47]                    // 0000000039B4: D3B14006 18025D2E
	v_pk_fma_f32 v[4:5], v[4:5], s[78:79], v[8:9]              // 0000000039BC: D3B04004 1C209D04
	v_pk_fma_f32 v[6:7], v[6:7], s[78:79], v[8:9]              // 0000000039C4: D3B04006 1C209D06
	v_pk_mul_f32 v[4:5], v[4:5], v[44:45]                      // 0000000039CC: D3B14004 18025904
	v_pk_mul_f32 v[6:7], v[6:7], v[46:47]                      // 0000000039D4: D3B14006 18025D06
	v_pk_mul_f32 v[4:5], v[4:5], s[60:61]                      // 0000000039DC: D3B14004 18007904
	v_pk_mul_f32 v[6:7], v[6:7], s[60:61]                      // 0000000039E4: D3B14006 18007906
	v_exp_f32_e32 v4, v4                                       // 0000000039EC: 7E084104
	v_exp_f32_e32 v5, v5                                       // 0000000039F0: 7E0A4105
	v_exp_f32_e32 v6, v6                                       // 0000000039F4: 7E0C4106
	v_exp_f32_e32 v7, v7                                       // 0000000039F8: 7E0E4107
	v_add_f32_e64 v4, v4, 1.0                                  // 0000000039FC: D1010004 0001E504
	v_add_f32_e64 v5, v5, 1.0                                  // 000000003A04: D1010005 0001E505
	v_add_f32_e64 v6, v6, 1.0                                  // 000000003A0C: D1010006 0001E506
	v_add_f32_e64 v7, v7, 1.0                                  // 000000003A14: D1010007 0001E507
	v_rcp_f32_e32 v4, v4                                       // 000000003A1C: 7E084504
	v_rcp_f32_e32 v5, v5                                       // 000000003A20: 7E0A4505
	v_rcp_f32_e32 v6, v6                                       // 000000003A24: 7E0C4506
	v_rcp_f32_e32 v7, v7                                       // 000000003A28: 7E0E4507
	v_mul_f32_e32 v44, v44, v4                                 // 000000003A2C: 0A58092C
	v_mul_f32_e32 v45, v45, v5                                 // 000000003A30: 0A5A0B2D
	v_mul_f32_e32 v46, v46, v6                                 // 000000003A34: 0A5C0D2E
	v_mul_f32_e32 v47, v47, v7                                 // 000000003A38: 0A5E0F2F
	v_mul_f32_e32 v44, v44, v52                                // 000000003A3C: 0A58692C
	v_mul_f32_e32 v45, v45, v53                                // 000000003A40: 0A5A6B2D
	v_mul_f32_e32 v46, v46, v54                                // 000000003A44: 0A5C6D2E
	v_mul_f32_e32 v47, v47, v55                                // 000000003A48: 0A5E6F2F
	s_branch label_0454                                        // 000000003A4C: BF820040

0000000000003a50 <label_0414>:
	v_mul_f32_e64 v4, -v40, s6                                 // 000000003A50: D1050004 20000D28
	v_mul_f32_e64 v5, -v41, s6                                 // 000000003A58: D1050005 20000D29
	v_mul_f32_e64 v6, -v42, s6                                 // 000000003A60: D1050006 20000D2A
	v_mul_f32_e64 v7, -v43, s6                                 // 000000003A68: D1050007 20000D2B
	v_exp_f32_e32 v4, v4                                       // 000000003A70: 7E084104
	v_exp_f32_e32 v5, v5                                       // 000000003A74: 7E0A4105
	v_exp_f32_e32 v6, v6                                       // 000000003A78: 7E0C4106
	v_exp_f32_e32 v7, v7                                       // 000000003A7C: 7E0E4107
	v_add_f32_e64 v4, v4, 1.0                                  // 000000003A80: D1010004 0001E504
	v_add_f32_e64 v5, v5, 1.0                                  // 000000003A88: D1010005 0001E505
	v_add_f32_e64 v6, v6, 1.0                                  // 000000003A90: D1010006 0001E506
	v_add_f32_e64 v7, v7, 1.0                                  // 000000003A98: D1010007 0001E507
	v_rcp_f32_e32 v4, v4                                       // 000000003AA0: 7E084504
	v_rcp_f32_e32 v5, v5                                       // 000000003AA4: 7E0A4505
	v_rcp_f32_e32 v6, v6                                       // 000000003AA8: 7E0C4506
	v_rcp_f32_e32 v7, v7                                       // 000000003AAC: 7E0E4507
	v_mul_f32_e32 v40, v40, v4                                 // 000000003AB0: 0A500928
	v_mul_f32_e32 v41, v41, v5                                 // 000000003AB4: 0A520B29
	v_mul_f32_e32 v42, v42, v6                                 // 000000003AB8: 0A540D2A
	v_mul_f32_e32 v43, v43, v7                                 // 000000003ABC: 0A560F2B
	v_mul_f32_e32 v40, v40, v48                                // 000000003AC0: 0A506128
	v_mul_f32_e32 v41, v41, v49                                // 000000003AC4: 0A526329
	v_mul_f32_e32 v42, v42, v50                                // 000000003AC8: 0A54652A
	v_mul_f32_e32 v43, v43, v51                                // 000000003ACC: 0A56672B
	v_mul_f32_e64 v4, -v44, s6                                 // 000000003AD0: D1050004 20000D2C
	v_mul_f32_e64 v5, -v45, s6                                 // 000000003AD8: D1050005 20000D2D
	v_mul_f32_e64 v6, -v46, s6                                 // 000000003AE0: D1050006 20000D2E
	v_mul_f32_e64 v7, -v47, s6                                 // 000000003AE8: D1050007 20000D2F
	v_exp_f32_e32 v4, v4                                       // 000000003AF0: 7E084104
	v_exp_f32_e32 v5, v5                                       // 000000003AF4: 7E0A4105
	v_exp_f32_e32 v6, v6                                       // 000000003AF8: 7E0C4106
	v_exp_f32_e32 v7, v7                                       // 000000003AFC: 7E0E4107
	v_add_f32_e64 v4, v4, 1.0                                  // 000000003B00: D1010004 0001E504
	v_add_f32_e64 v5, v5, 1.0                                  // 000000003B08: D1010005 0001E505
	v_add_f32_e64 v6, v6, 1.0                                  // 000000003B10: D1010006 0001E506
	v_add_f32_e64 v7, v7, 1.0                                  // 000000003B18: D1010007 0001E507
	v_rcp_f32_e32 v4, v4                                       // 000000003B20: 7E084504
	v_rcp_f32_e32 v5, v5                                       // 000000003B24: 7E0A4505
	v_rcp_f32_e32 v6, v6                                       // 000000003B28: 7E0C4506
	v_rcp_f32_e32 v7, v7                                       // 000000003B2C: 7E0E4507
	v_mul_f32_e32 v44, v44, v4                                 // 000000003B30: 0A58092C
	v_mul_f32_e32 v45, v45, v5                                 // 000000003B34: 0A5A0B2D
	v_mul_f32_e32 v46, v46, v6                                 // 000000003B38: 0A5C0D2E
	v_mul_f32_e32 v47, v47, v7                                 // 000000003B3C: 0A5E0F2F
	v_mul_f32_e32 v44, v44, v52                                // 000000003B40: 0A58692C
	v_mul_f32_e32 v45, v45, v53                                // 000000003B44: 0A5A6B2D
	v_mul_f32_e32 v46, v46, v54                                // 000000003B48: 0A5C6D2E
	v_mul_f32_e32 v47, v47, v55                                // 000000003B4C: 0A5E6F2F

0000000000003b50 <label_0454>:
	v_cmp_u_f32_e64 s[46:47], v40, v40                         // 000000003B50: D048002E 00025128
	v_add3_u32 v16, v40, v19, 1                                // 000000003B58: D1FF0010 02062728
	v_cndmask_b32_e64 v4, v16, v18, s[46:47]                   // 000000003B60: D1000004 00BA2510
	v_cmp_u_f32_e64 s[46:47], v41, v41                         // 000000003B68: D048002E 00025329
	v_add3_u32 v16, v41, v19, 1                                // 000000003B70: D1FF0010 02062729
	v_cndmask_b32_e64 v5, v16, v18, s[46:47]                   // 000000003B78: D1000005 00BA2510
	v_perm_b32 v40, v5, v4, s52                                // 000000003B80: D1ED0028 00D20905
	v_cmp_u_f32_e64 s[46:47], v42, v42                         // 000000003B88: D048002E 0002552A
	v_add3_u32 v16, v42, v19, 1                                // 000000003B90: D1FF0010 0206272A
	v_cndmask_b32_e64 v4, v16, v18, s[46:47]                   // 000000003B98: D1000004 00BA2510
	v_cmp_u_f32_e64 s[46:47], v43, v43                         // 000000003BA0: D048002E 0002572B
	v_add3_u32 v16, v43, v19, 1                                // 000000003BA8: D1FF0010 0206272B
	v_cndmask_b32_e64 v5, v16, v18, s[46:47]                   // 000000003BB0: D1000005 00BA2510
	v_perm_b32 v41, v5, v4, s52                                // 000000003BB8: D1ED0029 00D20905
	v_cmp_u_f32_e64 s[46:47], v44, v44                         // 000000003BC0: D048002E 0002592C
	v_add3_u32 v16, v44, v19, 1                                // 000000003BC8: D1FF0010 0206272C
	v_cndmask_b32_e64 v4, v16, v18, s[46:47]                   // 000000003BD0: D1000004 00BA2510
	v_cmp_u_f32_e64 s[46:47], v45, v45                         // 000000003BD8: D048002E 00025B2D
	v_add3_u32 v16, v45, v19, 1                                // 000000003BE0: D1FF0010 0206272D
	v_cndmask_b32_e64 v5, v16, v18, s[46:47]                   // 000000003BE8: D1000005 00BA2510
	v_perm_b32 v42, v5, v4, s52                                // 000000003BF0: D1ED002A 00D20905
	v_cmp_u_f32_e64 s[46:47], v46, v46                         // 000000003BF8: D048002E 00025D2E
	v_add3_u32 v16, v46, v19, 1                                // 000000003C00: D1FF0010 0206272E
	v_cndmask_b32_e64 v4, v16, v18, s[46:47]                   // 000000003C08: D1000004 00BA2510
	v_cmp_u_f32_e64 s[46:47], v47, v47                         // 000000003C10: D048002E 00025F2F
	v_add3_u32 v16, v47, v19, 1                                // 000000003C18: D1FF0010 0206272F
	v_cndmask_b32_e64 v5, v16, v18, s[46:47]                   // 000000003C20: D1000005 00BA2510
	v_perm_b32 v43, v5, v4, s52                                // 000000003C28: D1ED002B 00D20905
	ds_write_b64 v20, v[40:41]                                 // 000000003C30: D89A0000 00002814
	ds_write_b64 v20, v[42:43] offset:2176                     // 000000003C38: D89A0880 00002A14
	v_lshrrev_b32_e32 v4, 5, v0                                // 000000003C40: 20080085
	v_xor_b32_e32 v5, 1, v4                                    // 000000003C44: 2A0A0881
	s_mul_i32 s60, s65, 2                                      // 000000003C48: 923C8241
	s_cmp_eq_u32 s88, 0                                        // 000000003C4C: BF068058
	s_cselect_b32 s61, 1, 4                                    // 000000003C50: 853D8481
	s_mul_i32 s60, s61, s60                                    // 000000003C54: 923C3C3D
	v_readlane_b32 s82, v3, 0                                  // 000000003C58: D2890052 00010103
	s_lshr_b32 s61, s82, 24                                    // 000000003C60: 8F3D9852
	s_and_b32 s82, s82, 0xffffff                               // 000000003C64: 8652FF52 00FFFFFF
	s_mul_i32 s82, s82, s71                                    // 000000003C6C: 92524752
	s_mul_i32 s61, s60, s61                                    // 000000003C70: 923D3D3C
	s_add_u32 s82, s82, s61                                    // 000000003C74: 80523D52
	v_mul_lo_u32 v6, v5, s82                                   // 000000003C78: D2850006 0000A505
	v_readlane_b32 s82, v3, 1                                  // 000000003C80: D2890052 00010303
	s_lshr_b32 s61, s82, 24                                    // 000000003C88: 8F3D9852
	s_and_b32 s82, s82, 0xffffff                               // 000000003C8C: 8652FF52 00FFFFFF
	s_mul_i32 s82, s82, s71                                    // 000000003C94: 92524752
	s_mul_i32 s61, s60, s61                                    // 000000003C98: 923D3D3C
	s_add_u32 s82, s82, s61                                    // 000000003C9C: 80523D52
	v_mul_lo_u32 v7, v4, s82                                   // 000000003CA0: D2850007 0000A504
	v_add_u32_e32 v34, v6, v7                                  // 000000003CA8: 68440F06
	v_readlane_b32 s82, v3, 2                                  // 000000003CAC: D2890052 00010503
	s_lshr_b32 s61, s82, 24                                    // 000000003CB4: 8F3D9852
	s_and_b32 s82, s82, 0xffffff                               // 000000003CB8: 8652FF52 00FFFFFF
	s_mul_i32 s82, s82, s71                                    // 000000003CC0: 92524752
	s_mul_i32 s61, s60, s61                                    // 000000003CC4: 923D3D3C
	s_add_u32 s82, s82, s61                                    // 000000003CC8: 80523D52
	v_mul_lo_u32 v6, v5, s82                                   // 000000003CCC: D2850006 0000A505
	v_readlane_b32 s82, v3, 3                                  // 000000003CD4: D2890052 00010703
	s_lshr_b32 s61, s82, 24                                    // 000000003CDC: 8F3D9852
	s_and_b32 s82, s82, 0xffffff                               // 000000003CE0: 8652FF52 00FFFFFF
	s_mul_i32 s82, s82, s71                                    // 000000003CE8: 92524752
	s_mul_i32 s61, s60, s61                                    // 000000003CEC: 923D3D3C
	s_add_u32 s82, s82, s61                                    // 000000003CF0: 80523D52
	v_mul_lo_u32 v7, v4, s82                                   // 000000003CF4: D2850007 0000A504
	v_add_u32_e32 v35, v6, v7                                  // 000000003CFC: 68460F06
	v_and_b32_e32 v4, 31, v0                                   // 000000003D00: 2608009F
	v_lshrrev_b32_e32 v4, 1, v4                                // 000000003D04: 20080881
	s_cmp_eq_u32 s88, 0                                        // 000000003D08: BF068058
	s_cselect_b32 s61, 2, 4                                    // 000000003D0C: 853D8482
	v_mul_lo_u32 v4, v4, s61                                   // 000000003D10: D2850004 00007B04
	v_and_b32_e64 v5, v0, 1                                    // 000000003D18: D1130005 00010300
	v_add_u32_e32 v4, v4, v5                                   // 000000003D20: 68080B04
	v_lshlrev_b32_e32 v4, 2, v4                                // 000000003D24: 24080882
	v_add_u32_e32 v34, v34, v4                                 // 000000003D28: 68440922
	v_add_u32_e32 v35, v35, v4                                 // 000000003D2C: 68460923
	s_waitcnt lgkmcnt(0)                                       // 000000003D30: BF8CC07F
	s_barrier                                                  // 000000003D34: BF8A0000
	ds_read_b32 v40, v21                                       // 000000003D38: D86C0000 28000015
	ds_read_b32 v41, v21 offset:64                             // 000000003D40: D86C0040 29000015
	ds_read_b32 v42, v21 offset:2176                           // 000000003D48: D86C0880 2A000015
	ds_read_b32 v43, v21 offset:2240                           // 000000003D50: D86C08C0 2B000015
	s_waitcnt lgkmcnt(0)                                       // 000000003D58: BF8CC07F
	s_mov_b32 s36, -1                                          // 000000003D5C: BEA400C1
	s_mov_b32 s37, -1                                          // 000000003D60: BEA500C1
	v_mov_b32_e32 v7, 0                                        // 000000003D64: 7E0E0280
	s_or_b32 s9, s9, 0x40000                                   // 000000003D68: 8709FF09 00040000
	s_mov_b64 exec, s[36:37]                                   // 000000003D70: BEFE0124
	v_mov_b32_e32 v6, v34                                      // 000000003D74: 7E0C0322
	s_mov_b64 s[60:61], 0                                      // 000000003D78: BEBC0180
	v_readlane_b32 s82, v3, 0                                  // 000000003D7C: D2890052 00010103
	s_and_b32 s82, s82, 0xffffff                               // 000000003D84: 8652FF52 00FFFFFF
	s_cmp_lt_u32 s82, s66                                      // 000000003D8C: BF0A4252
	s_cselect_b32 s20, s36, s60                                // 000000003D90: 85143C24
	v_readlane_b32 s82, v3, 1                                  // 000000003D94: D2890052 00010303
	s_and_b32 s82, s82, 0xffffff                               // 000000003D9C: 8652FF52 00FFFFFF
	s_cmp_lt_u32 s82, s66                                      // 000000003DA4: BF0A4252
	s_cselect_b32 s21, s36, s60                                // 000000003DA8: 85153C24
	s_mov_b64 exec, s[20:21]                                   // 000000003DAC: BEFE0114
	buffer_store_dword v40, v6, s[8:11], 0 offen               // 000000003DB0: E0701000 80022806
	buffer_store_dword v42, v6, s[8:11], 0 offen offset:128    // 000000003DB8: E0701080 80022A06
	s_mov_b64 exec, s[36:37]                                   // 000000003DC0: BEFE0124
	v_mov_b32_e32 v6, v35                                      // 000000003DC4: 7E0C0323
	s_mov_b64 s[60:61], 0                                      // 000000003DC8: BEBC0180
	v_readlane_b32 s82, v3, 2                                  // 000000003DCC: D2890052 00010503
	s_and_b32 s82, s82, 0xffffff                               // 000000003DD4: 8652FF52 00FFFFFF
	s_cmp_lt_u32 s82, s66                                      // 000000003DDC: BF0A4252
	s_cselect_b32 s20, s36, s60                                // 000000003DE0: 85143C24
	v_readlane_b32 s82, v3, 3                                  // 000000003DE4: D2890052 00010703
	s_and_b32 s82, s82, 0xffffff                               // 000000003DEC: 8652FF52 00FFFFFF
	s_cmp_lt_u32 s82, s66                                      // 000000003DF4: BF0A4252
	s_cselect_b32 s21, s36, s60                                // 000000003DF8: 85153C24
	s_mov_b64 exec, s[20:21]                                   // 000000003DFC: BEFE0114
	buffer_store_dword v41, v6, s[8:11], 0 offen               // 000000003E00: E0701000 80022906
	buffer_store_dword v43, v6, s[8:11], 0 offen offset:128    // 000000003E08: E0701080 80022B06
	s_mov_b64 exec, s[36:37]                                   // 000000003E10: BEFE0124
	s_branch label_0AC6                                        // 000000003E14: BF8205BD

0000000000003e18 <label_0506>:
	ds_write_b64 v20, v[40:41]                                 // 000000003E18: D89A0000 00002814
	ds_write_b64 v20, v[44:45] offset:2176                     // 000000003E20: D89A0880 00002C14
	v_lshrrev_b32_e32 v4, 5, v0                                // 000000003E28: 20080085
	v_xor_b32_e32 v5, 1, v4                                    // 000000003E2C: 2A0A0881
	s_mul_i32 s60, s65, 2                                      // 000000003E30: 923C8241
	s_cmp_eq_u32 s88, 0                                        // 000000003E34: BF068058
	s_cselect_b32 s61, 1, 4                                    // 000000003E38: 853D8481
	s_mul_i32 s60, s61, s60                                    // 000000003E3C: 923C3C3D
	v_readlane_b32 s82, v3, 0                                  // 000000003E40: D2890052 00010103
	s_lshr_b32 s61, s82, 24                                    // 000000003E48: 8F3D9852
	s_and_b32 s82, s82, 0xffffff                               // 000000003E4C: 8652FF52 00FFFFFF
	s_mul_i32 s82, s82, s71                                    // 000000003E54: 92524752
	s_mul_i32 s61, s60, s61                                    // 000000003E58: 923D3D3C
	s_add_u32 s82, s82, s61                                    // 000000003E5C: 80523D52
	v_mul_lo_u32 v6, v5, s82                                   // 000000003E60: D2850006 0000A505
	v_readlane_b32 s82, v3, 1                                  // 000000003E68: D2890052 00010303
	s_lshr_b32 s61, s82, 24                                    // 000000003E70: 8F3D9852
	s_and_b32 s82, s82, 0xffffff                               // 000000003E74: 8652FF52 00FFFFFF
	s_mul_i32 s82, s82, s71                                    // 000000003E7C: 92524752
	s_mul_i32 s61, s60, s61                                    // 000000003E80: 923D3D3C
	s_add_u32 s82, s82, s61                                    // 000000003E84: 80523D52
	v_mul_lo_u32 v7, v4, s82                                   // 000000003E88: D2850007 0000A504
	v_add_u32_e32 v34, v6, v7                                  // 000000003E90: 68440F06
	v_readlane_b32 s82, v3, 2                                  // 000000003E94: D2890052 00010503
	s_lshr_b32 s61, s82, 24                                    // 000000003E9C: 8F3D9852
	s_and_b32 s82, s82, 0xffffff                               // 000000003EA0: 8652FF52 00FFFFFF
	s_mul_i32 s82, s82, s71                                    // 000000003EA8: 92524752
	s_mul_i32 s61, s60, s61                                    // 000000003EAC: 923D3D3C
	s_add_u32 s82, s82, s61                                    // 000000003EB0: 80523D52
	v_mul_lo_u32 v6, v5, s82                                   // 000000003EB4: D2850006 0000A505
	v_readlane_b32 s82, v3, 3                                  // 000000003EBC: D2890052 00010703
	s_lshr_b32 s61, s82, 24                                    // 000000003EC4: 8F3D9852
	s_and_b32 s82, s82, 0xffffff                               // 000000003EC8: 8652FF52 00FFFFFF
	s_mul_i32 s82, s82, s71                                    // 000000003ED0: 92524752
	s_mul_i32 s61, s60, s61                                    // 000000003ED4: 923D3D3C
	s_add_u32 s82, s82, s61                                    // 000000003ED8: 80523D52
	v_mul_lo_u32 v7, v4, s82                                   // 000000003EDC: D2850007 0000A504
	v_add_u32_e32 v35, v6, v7                                  // 000000003EE4: 68460F06
	v_and_b32_e32 v4, 31, v0                                   // 000000003EE8: 2608009F
	v_lshrrev_b32_e32 v4, 1, v4                                // 000000003EEC: 20080881
	s_cmp_eq_u32 s88, 0                                        // 000000003EF0: BF068058
	s_cselect_b32 s61, 2, 4                                    // 000000003EF4: 853D8482
	v_mul_lo_u32 v4, v4, s61                                   // 000000003EF8: D2850004 00007B04
	v_and_b32_e64 v5, v0, 1                                    // 000000003F00: D1130005 00010300
	v_add_u32_e32 v4, v4, v5                                   // 000000003F08: 68080B04
	v_lshlrev_b32_e32 v4, 2, v4                                // 000000003F0C: 24080882
	v_add_u32_e32 v34, v34, v4                                 // 000000003F10: 68440922
	v_add_u32_e32 v35, v35, v4                                 // 000000003F14: 68460923
	s_waitcnt lgkmcnt(0)                                       // 000000003F18: BF8CC07F
	s_barrier                                                  // 000000003F1C: BF8A0000
	ds_read_b32 v40, v21                                       // 000000003F20: D86C0000 28000015
	ds_read_b32 v41, v21 offset:64                             // 000000003F28: D86C0040 29000015
	ds_read_b32 v44, v21 offset:2176                           // 000000003F30: D86C0880 2C000015
	ds_read_b32 v45, v21 offset:2240                           // 000000003F38: D86C08C0 2D000015
	s_waitcnt lgkmcnt(0)                                       // 000000003F40: BF8CC07F
	s_mov_b32 s36, -1                                          // 000000003F44: BEA400C1
	s_mov_b32 s37, -1                                          // 000000003F48: BEA500C1
	v_mov_b32_e32 v7, 0                                        // 000000003F4C: 7E0E0280
	s_mov_b64 exec, s[36:37]                                   // 000000003F50: BEFE0124
	v_mov_b32_e32 v6, v34                                      // 000000003F54: 7E0C0322
	s_mov_b64 s[60:61], 0                                      // 000000003F58: BEBC0180
	v_readlane_b32 s82, v3, 0                                  // 000000003F5C: D2890052 00010103
	s_and_b32 s82, s82, 0xffffff                               // 000000003F64: 8652FF52 00FFFFFF
	s_cmp_lt_u32 s82, s66                                      // 000000003F6C: BF0A4252
	s_cselect_b32 s20, s36, s60                                // 000000003F70: 85143C24
	v_readlane_b32 s82, v3, 1                                  // 000000003F74: D2890052 00010303
	s_and_b32 s82, s82, 0xffffff                               // 000000003F7C: 8652FF52 00FFFFFF
	s_cmp_lt_u32 s82, s66                                      // 000000003F84: BF0A4252
	s_cselect_b32 s21, s36, s60                                // 000000003F88: 85153C24
	s_mov_b64 exec, s[20:21]                                   // 000000003F8C: BEFE0114
	global_atomic_add_f32 v6, v40, s[8:9]                      // 000000003F90: DD348000 00082806
	global_atomic_add_f32 v6, v44, s[8:9] offset:256           // 000000003F98: DD348100 00082C06
	s_mov_b64 exec, s[36:37]                                   // 000000003FA0: BEFE0124
	v_mov_b32_e32 v6, v35                                      // 000000003FA4: 7E0C0323
	s_mov_b64 s[60:61], 0                                      // 000000003FA8: BEBC0180
	v_readlane_b32 s82, v3, 2                                  // 000000003FAC: D2890052 00010503
	s_and_b32 s82, s82, 0xffffff                               // 000000003FB4: 8652FF52 00FFFFFF
	s_cmp_lt_u32 s82, s66                                      // 000000003FBC: BF0A4252
	s_cselect_b32 s20, s36, s60                                // 000000003FC0: 85143C24
	v_readlane_b32 s82, v3, 3                                  // 000000003FC4: D2890052 00010703
	s_and_b32 s82, s82, 0xffffff                               // 000000003FCC: 8652FF52 00FFFFFF
	s_cmp_lt_u32 s82, s66                                      // 000000003FD4: BF0A4252
	s_cselect_b32 s21, s36, s60                                // 000000003FD8: 85153C24
	s_mov_b64 exec, s[20:21]                                   // 000000003FDC: BEFE0114
	global_atomic_add_f32 v6, v41, s[8:9]                      // 000000003FE0: DD348000 00082906
	global_atomic_add_f32 v6, v45, s[8:9] offset:256           // 000000003FE8: DD348100 00082D06
	s_mov_b64 exec, s[36:37]                                   // 000000003FF0: BEFE0124
	ds_write_b64 v20, v[42:43]                                 // 000000003FF4: D89A0000 00002A14
	ds_write_b64 v20, v[46:47] offset:2176                     // 000000003FFC: D89A0880 00002E14
	s_waitcnt lgkmcnt(0)                                       // 000000004004: BF8CC07F
	s_barrier                                                  // 000000004008: BF8A0000
	ds_read_b32 v42, v21                                       // 00000000400C: D86C0000 2A000015
	ds_read_b32 v43, v21 offset:64                             // 000000004014: D86C0040 2B000015
	ds_read_b32 v46, v21 offset:2176                           // 00000000401C: D86C0880 2E000015
	ds_read_b32 v47, v21 offset:2240                           // 000000004024: D86C08C0 2F000015
	s_waitcnt lgkmcnt(0)                                       // 00000000402C: BF8CC07F
	v_mov_b32_e32 v7, 0                                        // 000000004030: 7E0E0280
	s_mov_b64 exec, s[36:37]                                   // 000000004034: BEFE0124
	v_mov_b32_e32 v6, v34                                      // 000000004038: 7E0C0322
	s_mov_b64 s[60:61], 0                                      // 00000000403C: BEBC0180
	v_readlane_b32 s82, v3, 0                                  // 000000004040: D2890052 00010103
	s_and_b32 s82, s82, 0xffffff                               // 000000004048: 8652FF52 00FFFFFF
	s_cmp_lt_u32 s82, s66                                      // 000000004050: BF0A4252
	s_cselect_b32 s20, s36, s60                                // 000000004054: 85143C24
	v_readlane_b32 s82, v3, 1                                  // 000000004058: D2890052 00010303
	s_and_b32 s82, s82, 0xffffff                               // 000000004060: 8652FF52 00FFFFFF
	s_cmp_lt_u32 s82, s66                                      // 000000004068: BF0A4252
	s_cselect_b32 s21, s36, s60                                // 00000000406C: 85153C24
	s_mov_b64 exec, s[20:21]                                   // 000000004070: BEFE0114
	global_atomic_add_f32 v6, v42, s[8:9] offset:8             // 000000004074: DD348008 00082A06
	global_atomic_add_f32 v6, v46, s[8:9] offset:264           // 00000000407C: DD348108 00082E06
	s_mov_b64 exec, s[36:37]                                   // 000000004084: BEFE0124
	v_mov_b32_e32 v6, v35                                      // 000000004088: 7E0C0323
	s_mov_b64 s[60:61], 0                                      // 00000000408C: BEBC0180
	v_readlane_b32 s82, v3, 2                                  // 000000004090: D2890052 00010503
	s_and_b32 s82, s82, 0xffffff                               // 000000004098: 8652FF52 00FFFFFF
	s_cmp_lt_u32 s82, s66                                      // 0000000040A0: BF0A4252
	s_cselect_b32 s20, s36, s60                                // 0000000040A4: 85143C24
	v_readlane_b32 s82, v3, 3                                  // 0000000040A8: D2890052 00010703
	s_and_b32 s82, s82, 0xffffff                               // 0000000040B0: 8652FF52 00FFFFFF
	s_cmp_lt_u32 s82, s66                                      // 0000000040B8: BF0A4252
	s_cselect_b32 s21, s36, s60                                // 0000000040BC: 85153C24
	s_mov_b64 exec, s[20:21]                                   // 0000000040C0: BEFE0114
	global_atomic_add_f32 v6, v43, s[8:9] offset:8             // 0000000040C4: DD348008 00082B06
	global_atomic_add_f32 v6, v47, s[8:9] offset:264           // 0000000040CC: DD348108 00082F06
	s_mov_b64 exec, s[36:37]                                   // 0000000040D4: BEFE0124
	ds_write_b64 v20, v[48:49]                                 // 0000000040D8: D89A0000 00003014
	ds_write_b64 v20, v[52:53] offset:2176                     // 0000000040E0: D89A0880 00003414
	s_waitcnt lgkmcnt(0)                                       // 0000000040E8: BF8CC07F
	s_barrier                                                  // 0000000040EC: BF8A0000
	ds_read_b32 v48, v21                                       // 0000000040F0: D86C0000 30000015
	ds_read_b32 v49, v21 offset:64                             // 0000000040F8: D86C0040 31000015
	ds_read_b32 v52, v21 offset:2176                           // 000000004100: D86C0880 34000015
	ds_read_b32 v53, v21 offset:2240                           // 000000004108: D86C08C0 35000015
	s_mul_i32 s60, s65, 4                                      // 000000004110: 923C8441
	s_add_u32 s8, s60, s8                                      // 000000004114: 8008083C
	s_addc_u32 s9, 0, s9                                       // 000000004118: 82090980
	s_waitcnt lgkmcnt(0)                                       // 00000000411C: BF8CC07F
	v_mov_b32_e32 v7, 0                                        // 000000004120: 7E0E0280
	s_mov_b64 exec, s[36:37]                                   // 000000004124: BEFE0124
	v_mov_b32_e32 v6, v34                                      // 000000004128: 7E0C0322
	s_mov_b64 s[60:61], 0                                      // 00000000412C: BEBC0180
	v_readlane_b32 s82, v3, 0                                  // 000000004130: D2890052 00010103
	s_and_b32 s82, s82, 0xffffff                               // 000000004138: 8652FF52 00FFFFFF
	s_cmp_lt_u32 s82, s66                                      // 000000004140: BF0A4252
	s_cselect_b32 s20, s36, s60                                // 000000004144: 85143C24
	v_readlane_b32 s82, v3, 1                                  // 000000004148: D2890052 00010303
	s_and_b32 s82, s82, 0xffffff                               // 000000004150: 8652FF52 00FFFFFF
	s_cmp_lt_u32 s82, s66                                      // 000000004158: BF0A4252
	s_cselect_b32 s21, s36, s60                                // 00000000415C: 85153C24
	s_mov_b64 exec, s[20:21]                                   // 000000004160: BEFE0114
	global_atomic_add_f32 v6, v48, s[8:9]                      // 000000004164: DD348000 00083006
	global_atomic_add_f32 v6, v52, s[8:9] offset:256           // 00000000416C: DD348100 00083406
	s_mov_b64 exec, s[36:37]                                   // 000000004174: BEFE0124
	v_mov_b32_e32 v6, v35                                      // 000000004178: 7E0C0323
	s_mov_b64 s[60:61], 0                                      // 00000000417C: BEBC0180
	v_readlane_b32 s82, v3, 2                                  // 000000004180: D2890052 00010503
	s_and_b32 s82, s82, 0xffffff                               // 000000004188: 8652FF52 00FFFFFF
	s_cmp_lt_u32 s82, s66                                      // 000000004190: BF0A4252
	s_cselect_b32 s20, s36, s60                                // 000000004194: 85143C24
	v_readlane_b32 s82, v3, 3                                  // 000000004198: D2890052 00010703
	s_and_b32 s82, s82, 0xffffff                               // 0000000041A0: 8652FF52 00FFFFFF
	s_cmp_lt_u32 s82, s66                                      // 0000000041A8: BF0A4252
	s_cselect_b32 s21, s36, s60                                // 0000000041AC: 85153C24
	s_mov_b64 exec, s[20:21]                                   // 0000000041B0: BEFE0114
	global_atomic_add_f32 v6, v49, s[8:9]                      // 0000000041B4: DD348000 00083106
	global_atomic_add_f32 v6, v53, s[8:9] offset:256           // 0000000041BC: DD348100 00083506
	s_mov_b64 exec, s[36:37]                                   // 0000000041C4: BEFE0124
	ds_write_b64 v20, v[50:51]                                 // 0000000041C8: D89A0000 00003214
	ds_write_b64 v20, v[54:55] offset:2176                     // 0000000041D0: D89A0880 00003614
	s_waitcnt lgkmcnt(0)                                       // 0000000041D8: BF8CC07F
	s_barrier                                                  // 0000000041DC: BF8A0000
	ds_read_b32 v50, v21                                       // 0000000041E0: D86C0000 32000015
	ds_read_b32 v51, v21 offset:64                             // 0000000041E8: D86C0040 33000015
	ds_read_b32 v54, v21 offset:2176                           // 0000000041F0: D86C0880 36000015
	ds_read_b32 v55, v21 offset:2240                           // 0000000041F8: D86C08C0 37000015
	s_waitcnt lgkmcnt(0)                                       // 000000004200: BF8CC07F
	v_mov_b32_e32 v7, 0                                        // 000000004204: 7E0E0280
	s_mov_b64 exec, s[36:37]                                   // 000000004208: BEFE0124
	v_mov_b32_e32 v6, v34                                      // 00000000420C: 7E0C0322
	s_mov_b64 s[60:61], 0                                      // 000000004210: BEBC0180
	v_readlane_b32 s82, v3, 0                                  // 000000004214: D2890052 00010103
	s_and_b32 s82, s82, 0xffffff                               // 00000000421C: 8652FF52 00FFFFFF
	s_cmp_lt_u32 s82, s66                                      // 000000004224: BF0A4252
	s_cselect_b32 s20, s36, s60                                // 000000004228: 85143C24
	v_readlane_b32 s82, v3, 1                                  // 00000000422C: D2890052 00010303
	s_and_b32 s82, s82, 0xffffff                               // 000000004234: 8652FF52 00FFFFFF
	s_cmp_lt_u32 s82, s66                                      // 00000000423C: BF0A4252
	s_cselect_b32 s21, s36, s60                                // 000000004240: 85153C24
	s_mov_b64 exec, s[20:21]                                   // 000000004244: BEFE0114
	global_atomic_add_f32 v6, v50, s[8:9] offset:8             // 000000004248: DD348008 00083206
	global_atomic_add_f32 v6, v54, s[8:9] offset:264           // 000000004250: DD348108 00083606
	s_mov_b64 exec, s[36:37]                                   // 000000004258: BEFE0124
	v_mov_b32_e32 v6, v35                                      // 00000000425C: 7E0C0323
	s_mov_b64 s[60:61], 0                                      // 000000004260: BEBC0180
	v_readlane_b32 s82, v3, 2                                  // 000000004264: D2890052 00010503
	s_and_b32 s82, s82, 0xffffff                               // 00000000426C: 8652FF52 00FFFFFF
	s_cmp_lt_u32 s82, s66                                      // 000000004274: BF0A4252
	s_cselect_b32 s20, s36, s60                                // 000000004278: 85143C24
	v_readlane_b32 s82, v3, 3                                  // 00000000427C: D2890052 00010703
	s_and_b32 s82, s82, 0xffffff                               // 000000004284: 8652FF52 00FFFFFF
	s_cmp_lt_u32 s82, s66                                      // 00000000428C: BF0A4252
	s_cselect_b32 s21, s36, s60                                // 000000004290: 85153C24
	s_mov_b64 exec, s[20:21]                                   // 000000004294: BEFE0114
	global_atomic_add_f32 v6, v51, s[8:9] offset:8             // 000000004298: DD348008 00083306
	global_atomic_add_f32 v6, v55, s[8:9] offset:264           // 0000000042A0: DD348108 00083706
	s_mov_b64 exec, s[36:37]                                   // 0000000042A8: BEFE0124
	s_branch label_0AC6                                        // 0000000042AC: BF820497

00000000000042b0 <label_062F>:
	s_waitcnt vmcnt(6) lgkmcnt(0)                              // 0000000042B0: BF8C0076
	v_mfma_f32_16x16x32_fp8_fp8 v[40:43], a[16:17], a[0:1], v[40:43]// 0000000042B4: D3F30028 1CA20110
	buffer_load_dwordx4 a[48:51], v36, s[24:27], 0 offen       // 0000000042BC: E05C1000 80863024
	v_mfma_f32_16x16x32_fp8_fp8 v[40:43], a[18:19], a[2:3], v[40:43]// 0000000042C4: D3F30028 1CA20512
	v_mfma_f32_16x16x32_fp8_fp8 v[40:43], a[20:21], a[4:5], v[40:43]// 0000000042CC: D3F30028 1CA20914
	v_mfma_f32_16x16x32_fp8_fp8 v[40:43], a[22:23], a[6:7], v[40:43]// 0000000042D4: D3F30028 1CA20D16
	v_mfma_f32_16x16x32_fp8_fp8 v[44:47], a[24:25], a[0:1], v[44:47]// 0000000042DC: D3F3002C 1CB20118
	buffer_load_dwordx4 a[52:55], v36, s[24:27], 0 offen offset:1024// 0000000042E4: E05C1400 80863424
	v_mfma_f32_16x16x32_fp8_fp8 v[44:47], a[26:27], a[2:3], v[44:47]// 0000000042EC: D3F3002C 1CB2051A
	v_mfma_f32_16x16x32_fp8_fp8 v[44:47], a[28:29], a[4:5], v[44:47]// 0000000042F4: D3F3002C 1CB2091C
	v_mfma_f32_16x16x32_fp8_fp8 v[44:47], a[30:31], a[6:7], v[44:47]// 0000000042FC: D3F3002C 1CB20D1E
	buffer_load_dwordx4 a[56:59], v37, s[24:27], 0 offen       // 000000004304: E05C1000 80863825
	buffer_load_dwordx4 a[60:63], v37, s[24:27], 0 offen offset:1024// 00000000430C: E05C1400 80863C25
	buffer_load_dword v34, s[20:23], 0 offen lds               // 000000004314: E0511000 80050022
	s_add_u32 m0, 0x100, s50                                   // 00000000431C: 807C32FF 00000100
	buffer_load_dword v35, s[20:23], 0 offen lds               // 000000004324: E0511000 80050023
	s_add_u32 m0, 0, s48                                       // 00000000432C: 807C3080
	s_waitcnt vmcnt(6)                                         // 000000004330: BF8C0F76
	s_barrier                                                  // 000000004334: BF8A0000
	v_mfma_f32_16x16x32_fp8_fp8 v[48:51], a[32:33], a[0:1], v[48:51]// 000000004338: D3F30030 1CC20120
	buffer_load_dwordx4 a[16:19], v36, s[84:87], 0 offen       // 000000004340: E05C1000 80951024
	s_add_u32 s60, 0x180, s80                                  // 000000004348: 803C50FF 00000180
	s_cmp_lt_u32 s60, s81                                      // 000000004350: BF0A513C
	s_cselect_b32 s57, s57, 0                                  // 000000004354: 85398039
	v_mfma_f32_16x16x32_fp8_fp8 v[48:51], a[34:35], a[2:3], v[48:51]// 000000004358: D3F30030 1CC20522
	s_add_u32 s60, 0x100, s80                                  // 000000004360: 803C50FF 00000100
	s_cmp_lt_u32 s60, s81                                      // 000000004368: BF0A513C
	s_cselect_b32 s58, s58, 0                                  // 00000000436C: 853A803A
	v_mfma_f32_16x16x32_fp8_fp8 v[48:51], a[36:37], a[4:5], v[48:51]// 000000004370: D3F30030 1CC20924
	ds_read_b128 a[8:11], v2 offset:2176                       // 000000004378: DBFE0880 08000002
	ds_read_b128 a[12:15], v2 offset:2240                      // 000000004380: DBFE08C0 0C000002
	s_add_u32 s60, 0x100, s80                                  // 000000004388: 803C50FF 00000100
	s_cmp_lt_u32 s60, s81                                      // 000000004390: BF0A513C
	s_cselect_b32 s83, s83, 0                                  // 000000004394: 85538053
	v_mfma_f32_16x16x32_fp8_fp8 v[48:51], a[38:39], a[6:7], v[48:51]// 000000004398: D3F30030 1CC20D26
	s_add_u32 s24, s58, s24                                    // 0000000043A0: 8018183A
	s_addc_u32 s25, 0, s25                                     // 0000000043A4: 82191980
	v_mfma_f32_16x16x32_fp8_fp8 v[52:55], a[40:41], a[0:1], v[52:55]// 0000000043A8: D3F30034 1CD20128
	buffer_load_dwordx4 a[20:23], v36, s[84:87], 0 offen offset:1024// 0000000043B0: E05C1400 80951424
	s_add_u32 s20, s57, s20                                    // 0000000043B8: 80141439
	s_addc_u32 s21, 0, s21                                     // 0000000043BC: 82151580
	v_mfma_f32_16x16x32_fp8_fp8 v[52:55], a[42:43], a[2:3], v[52:55]// 0000000043C0: D3F30034 1CD2052A
	v_mfma_f32_16x16x32_fp8_fp8 v[52:55], a[44:45], a[4:5], v[52:55]// 0000000043C8: D3F30034 1CD2092C
	v_mfma_f32_16x16x32_fp8_fp8 v[52:55], a[46:47], a[6:7], v[52:55]// 0000000043D0: D3F30034 1CD20D2E
	buffer_load_dwordx4 a[24:27], v37, s[84:87], 0 offen       // 0000000043D8: E05C1000 80951825
	buffer_load_dwordx4 a[28:31], v37, s[84:87], 0 offen offset:1024// 0000000043E0: E05C1400 80951C25
	s_add_u32 s84, s83, s84                                    // 0000000043E8: 80545453
	s_addc_u32 s85, 0, s85                                     // 0000000043EC: 82555580
	s_addk_i32 s80, 0x80                                       // 0000000043F0: B7500080
	s_cmp_lt_i32 s80, s81                                      // 0000000043F4: BF045150
	s_cbranch_scc0 label_0822                                  // 0000000043F8: BF8401A0
	s_waitcnt vmcnt(6) lgkmcnt(0)                              // 0000000043FC: BF8C0076
	v_mfma_f32_16x16x32_fp8_fp8 v[40:43], a[48:49], a[8:9], v[40:43]// 000000004400: D3F30028 1CA21130
	buffer_load_dwordx4 a[32:35], v36, s[24:27], 0 offen       // 000000004408: E05C1000 80862024
	v_mfma_f32_16x16x32_fp8_fp8 v[40:43], a[50:51], a[10:11], v[40:43]// 000000004410: D3F30028 1CA21532
	v_mfma_f32_16x16x32_fp8_fp8 v[40:43], a[52:53], a[12:13], v[40:43]// 000000004418: D3F30028 1CA21934
	v_mfma_f32_16x16x32_fp8_fp8 v[40:43], a[54:55], a[14:15], v[40:43]// 000000004420: D3F30028 1CA21D36
	v_mfma_f32_16x16x32_fp8_fp8 v[44:47], a[56:57], a[8:9], v[44:47]// 000000004428: D3F3002C 1CB21138
	buffer_load_dwordx4 a[36:39], v36, s[24:27], 0 offen offset:1024// 000000004430: E05C1400 80862424
	v_mfma_f32_16x16x32_fp8_fp8 v[44:47], a[58:59], a[10:11], v[44:47]// 000000004438: D3F3002C 1CB2153A
	v_mfma_f32_16x16x32_fp8_fp8 v[44:47], a[60:61], a[12:13], v[44:47]// 000000004440: D3F3002C 1CB2193C
	v_mfma_f32_16x16x32_fp8_fp8 v[44:47], a[62:63], a[14:15], v[44:47]// 000000004448: D3F3002C 1CB21D3E
	buffer_load_dwordx4 a[40:43], v37, s[24:27], 0 offen       // 000000004450: E05C1000 80862825
	buffer_load_dwordx4 a[44:47], v37, s[24:27], 0 offen offset:1024// 000000004458: E05C1400 80862C25
	buffer_load_dword v34, s[20:23], 0 offen lds               // 000000004460: E0511000 80050022
	s_add_u32 m0, 0x100, s48                                   // 000000004468: 807C30FF 00000100
	buffer_load_dword v35, s[20:23], 0 offen lds               // 000000004470: E0511000 80050023
	s_add_u32 m0, 0, s49                                       // 000000004478: 807C3180
	s_waitcnt vmcnt(6)                                         // 00000000447C: BF8C0F76
	s_barrier                                                  // 000000004480: BF8A0000
	v_mfma_f32_16x16x32_fp8_fp8 v[48:51], a[16:17], a[8:9], v[48:51]// 000000004484: D3F30030 1CC21110
	buffer_load_dwordx4 a[48:51], v36, s[84:87], 0 offen       // 00000000448C: E05C1000 80953024
	s_add_u32 s60, 0x180, s80                                  // 000000004494: 803C50FF 00000180
	s_cmp_lt_u32 s60, s81                                      // 00000000449C: BF0A513C
	s_cselect_b32 s57, s57, 0                                  // 0000000044A0: 85398039
	v_mfma_f32_16x16x32_fp8_fp8 v[48:51], a[18:19], a[10:11], v[48:51]// 0000000044A4: D3F30030 1CC21512
	s_add_u32 s60, 0x100, s80                                  // 0000000044AC: 803C50FF 00000100
	s_cmp_lt_u32 s60, s81                                      // 0000000044B4: BF0A513C
	s_cselect_b32 s58, s58, 0                                  // 0000000044B8: 853A803A
	v_mfma_f32_16x16x32_fp8_fp8 v[48:51], a[20:21], a[12:13], v[48:51]// 0000000044BC: D3F30030 1CC21914
	ds_read_b128 a[0:3], v2 offset:4352                        // 0000000044C4: DBFE1100 00000002
	ds_read_b128 a[4:7], v2 offset:4416                        // 0000000044CC: DBFE1140 04000002
	s_add_u32 s60, 0x100, s80                                  // 0000000044D4: 803C50FF 00000100
	s_cmp_lt_u32 s60, s81                                      // 0000000044DC: BF0A513C
	s_cselect_b32 s83, s83, 0                                  // 0000000044E0: 85538053
	v_mfma_f32_16x16x32_fp8_fp8 v[48:51], a[22:23], a[14:15], v[48:51]// 0000000044E4: D3F30030 1CC21D16
	s_add_u32 s24, s58, s24                                    // 0000000044EC: 8018183A
	s_addc_u32 s25, 0, s25                                     // 0000000044F0: 82191980
	v_mfma_f32_16x16x32_fp8_fp8 v[52:55], a[24:25], a[8:9], v[52:55]// 0000000044F4: D3F30034 1CD21118
	buffer_load_dwordx4 a[52:55], v36, s[84:87], 0 offen offset:1024// 0000000044FC: E05C1400 80953424
	s_add_u32 s20, s57, s20                                    // 000000004504: 80141439
	s_addc_u32 s21, 0, s21                                     // 000000004508: 82151580
	v_mfma_f32_16x16x32_fp8_fp8 v[52:55], a[26:27], a[10:11], v[52:55]// 00000000450C: D3F30034 1CD2151A
	v_mfma_f32_16x16x32_fp8_fp8 v[52:55], a[28:29], a[12:13], v[52:55]// 000000004514: D3F30034 1CD2191C
	v_mfma_f32_16x16x32_fp8_fp8 v[52:55], a[30:31], a[14:15], v[52:55]// 00000000451C: D3F30034 1CD21D1E
	buffer_load_dwordx4 a[56:59], v37, s[84:87], 0 offen       // 000000004524: E05C1000 80953825
	buffer_load_dwordx4 a[60:63], v37, s[84:87], 0 offen offset:1024// 00000000452C: E05C1400 80953C25
	s_add_u32 s84, s83, s84                                    // 000000004534: 80545453
	s_addc_u32 s85, 0, s85                                     // 000000004538: 82555580
	s_addk_i32 s80, 0x80                                       // 00000000453C: B7500080
	s_cmp_lt_i32 s80, s81                                      // 000000004540: BF045150
	s_cbranch_scc0 label_0822                                  // 000000004544: BF84014D
	s_waitcnt vmcnt(6) lgkmcnt(0)                              // 000000004548: BF8C0076
	v_mfma_f32_16x16x32_fp8_fp8 v[40:43], a[32:33], a[0:1], v[40:43]// 00000000454C: D3F30028 1CA20120
	buffer_load_dwordx4 a[16:19], v36, s[24:27], 0 offen       // 000000004554: E05C1000 80861024
	v_mfma_f32_16x16x32_fp8_fp8 v[40:43], a[34:35], a[2:3], v[40:43]// 00000000455C: D3F30028 1CA20522
	v_mfma_f32_16x16x32_fp8_fp8 v[40:43], a[36:37], a[4:5], v[40:43]// 000000004564: D3F30028 1CA20924
	v_mfma_f32_16x16x32_fp8_fp8 v[40:43], a[38:39], a[6:7], v[40:43]// 00000000456C: D3F30028 1CA20D26
	v_mfma_f32_16x16x32_fp8_fp8 v[44:47], a[40:41], a[0:1], v[44:47]// 000000004574: D3F3002C 1CB20128
	buffer_load_dwordx4 a[20:23], v36, s[24:27], 0 offen offset:1024// 00000000457C: E05C1400 80861424
	v_mfma_f32_16x16x32_fp8_fp8 v[44:47], a[42:43], a[2:3], v[44:47]// 000000004584: D3F3002C 1CB2052A
	v_mfma_f32_16x16x32_fp8_fp8 v[44:47], a[44:45], a[4:5], v[44:47]// 00000000458C: D3F3002C 1CB2092C
	v_mfma_f32_16x16x32_fp8_fp8 v[44:47], a[46:47], a[6:7], v[44:47]// 000000004594: D3F3002C 1CB20D2E
	buffer_load_dwordx4 a[24:27], v37, s[24:27], 0 offen       // 00000000459C: E05C1000 80861825
	buffer_load_dwordx4 a[28:31], v37, s[24:27], 0 offen offset:1024// 0000000045A4: E05C1400 80861C25
	buffer_load_dword v34, s[20:23], 0 offen lds               // 0000000045AC: E0511000 80050022
	s_add_u32 m0, 0x100, s49                                   // 0000000045B4: 807C31FF 00000100
	buffer_load_dword v35, s[20:23], 0 offen lds               // 0000000045BC: E0511000 80050023
	s_add_u32 m0, 0, s50                                       // 0000000045C4: 807C3280
	s_waitcnt vmcnt(6)                                         // 0000000045C8: BF8C0F76
	s_barrier                                                  // 0000000045CC: BF8A0000
	v_mfma_f32_16x16x32_fp8_fp8 v[48:51], a[48:49], a[0:1], v[48:51]// 0000000045D0: D3F30030 1CC20130
	buffer_load_dwordx4 a[32:35], v36, s[84:87], 0 offen       // 0000000045D8: E05C1000 80952024
	s_add_u32 s60, 0x180, s80                                  // 0000000045E0: 803C50FF 00000180
	s_cmp_lt_u32 s60, s81                                      // 0000000045E8: BF0A513C
	s_cselect_b32 s57, s57, 0                                  // 0000000045EC: 85398039
	v_mfma_f32_16x16x32_fp8_fp8 v[48:51], a[50:51], a[2:3], v[48:51]// 0000000045F0: D3F30030 1CC20532
	s_add_u32 s60, 0x100, s80                                  // 0000000045F8: 803C50FF 00000100
	s_cmp_lt_u32 s60, s81                                      // 000000004600: BF0A513C
	s_cselect_b32 s58, s58, 0                                  // 000000004604: 853A803A
	v_mfma_f32_16x16x32_fp8_fp8 v[48:51], a[52:53], a[4:5], v[48:51]// 000000004608: D3F30030 1CC20934
	ds_read_b128 a[8:11], v2                                   // 000000004610: DBFE0000 08000002
	ds_read_b128 a[12:15], v2 offset:64                        // 000000004618: DBFE0040 0C000002
	s_add_u32 s60, 0x100, s80                                  // 000000004620: 803C50FF 00000100
	s_cmp_lt_u32 s60, s81                                      // 000000004628: BF0A513C
	s_cselect_b32 s83, s83, 0                                  // 00000000462C: 85538053
	v_mfma_f32_16x16x32_fp8_fp8 v[48:51], a[54:55], a[6:7], v[48:51]// 000000004630: D3F30030 1CC20D36
	s_add_u32 s24, s58, s24                                    // 000000004638: 8018183A
	s_addc_u32 s25, 0, s25                                     // 00000000463C: 82191980
	v_mfma_f32_16x16x32_fp8_fp8 v[52:55], a[56:57], a[0:1], v[52:55]// 000000004640: D3F30034 1CD20138
	buffer_load_dwordx4 a[36:39], v36, s[84:87], 0 offen offset:1024// 000000004648: E05C1400 80952424
	s_add_u32 s20, s57, s20                                    // 000000004650: 80141439
	s_addc_u32 s21, 0, s21                                     // 000000004654: 82151580
	v_mfma_f32_16x16x32_fp8_fp8 v[52:55], a[58:59], a[2:3], v[52:55]// 000000004658: D3F30034 1CD2053A
	v_mfma_f32_16x16x32_fp8_fp8 v[52:55], a[60:61], a[4:5], v[52:55]// 000000004660: D3F30034 1CD2093C
	v_mfma_f32_16x16x32_fp8_fp8 v[52:55], a[62:63], a[6:7], v[52:55]// 000000004668: D3F30034 1CD20D3E
	buffer_load_dwordx4 a[40:43], v37, s[84:87], 0 offen       // 000000004670: E05C1000 80952825
	buffer_load_dwordx4 a[44:47], v37, s[84:87], 0 offen offset:1024// 000000004678: E05C1400 80952C25
	s_add_u32 s84, s83, s84                                    // 000000004680: 80545453
	s_addc_u32 s85, 0, s85                                     // 000000004684: 82555580
	s_addk_i32 s80, 0x80                                       // 000000004688: B7500080
	s_cmp_lt_i32 s80, s81                                      // 00000000468C: BF045150
	s_cbranch_scc0 label_0822                                  // 000000004690: BF8400FA
	s_waitcnt vmcnt(6) lgkmcnt(0)                              // 000000004694: BF8C0076
	v_mfma_f32_16x16x32_fp8_fp8 v[40:43], a[16:17], a[8:9], v[40:43]// 000000004698: D3F30028 1CA21110
	buffer_load_dwordx4 a[48:51], v36, s[24:27], 0 offen       // 0000000046A0: E05C1000 80863024
	v_mfma_f32_16x16x32_fp8_fp8 v[40:43], a[18:19], a[10:11], v[40:43]// 0000000046A8: D3F30028 1CA21512
	v_mfma_f32_16x16x32_fp8_fp8 v[40:43], a[20:21], a[12:13], v[40:43]// 0000000046B0: D3F30028 1CA21914
	v_mfma_f32_16x16x32_fp8_fp8 v[40:43], a[22:23], a[14:15], v[40:43]// 0000000046B8: D3F30028 1CA21D16
	v_mfma_f32_16x16x32_fp8_fp8 v[44:47], a[24:25], a[8:9], v[44:47]// 0000000046C0: D3F3002C 1CB21118
	buffer_load_dwordx4 a[52:55], v36, s[24:27], 0 offen offset:1024// 0000000046C8: E05C1400 80863424
	v_mfma_f32_16x16x32_fp8_fp8 v[44:47], a[26:27], a[10:11], v[44:47]// 0000000046D0: D3F3002C 1CB2151A
	v_mfma_f32_16x16x32_fp8_fp8 v[44:47], a[28:29], a[12:13], v[44:47]// 0000000046D8: D3F3002C 1CB2191C
	v_mfma_f32_16x16x32_fp8_fp8 v[44:47], a[30:31], a[14:15], v[44:47]// 0000000046E0: D3F3002C 1CB21D1E
	buffer_load_dwordx4 a[56:59], v37, s[24:27], 0 offen       // 0000000046E8: E05C1000 80863825
	buffer_load_dwordx4 a[60:63], v37, s[24:27], 0 offen offset:1024// 0000000046F0: E05C1400 80863C25
	buffer_load_dword v34, s[20:23], 0 offen lds               // 0000000046F8: E0511000 80050022
	s_add_u32 m0, 0x100, s50                                   // 000000004700: 807C32FF 00000100
	buffer_load_dword v35, s[20:23], 0 offen lds               // 000000004708: E0511000 80050023
	s_add_u32 m0, 0, s48                                       // 000000004710: 807C3080
	s_waitcnt vmcnt(6)                                         // 000000004714: BF8C0F76
	s_barrier                                                  // 000000004718: BF8A0000
	v_mfma_f32_16x16x32_fp8_fp8 v[48:51], a[32:33], a[8:9], v[48:51]// 00000000471C: D3F30030 1CC21120
	buffer_load_dwordx4 a[16:19], v36, s[84:87], 0 offen       // 000000004724: E05C1000 80951024
	s_add_u32 s60, 0x180, s80                                  // 00000000472C: 803C50FF 00000180
	s_cmp_lt_u32 s60, s81                                      // 000000004734: BF0A513C
	s_cselect_b32 s57, s57, 0                                  // 000000004738: 85398039
	v_mfma_f32_16x16x32_fp8_fp8 v[48:51], a[34:35], a[10:11], v[48:51]// 00000000473C: D3F30030 1CC21522
	s_add_u32 s60, 0x100, s80                                  // 000000004744: 803C50FF 00000100
	s_cmp_lt_u32 s60, s81                                      // 00000000474C: BF0A513C
	s_cselect_b32 s58, s58, 0                                  // 000000004750: 853A803A
	v_mfma_f32_16x16x32_fp8_fp8 v[48:51], a[36:37], a[12:13], v[48:51]// 000000004754: D3F30030 1CC21924
	ds_read_b128 a[0:3], v2 offset:2176                        // 00000000475C: DBFE0880 00000002
	ds_read_b128 a[4:7], v2 offset:2240                        // 000000004764: DBFE08C0 04000002
	s_add_u32 s60, 0x100, s80                                  // 00000000476C: 803C50FF 00000100
	s_cmp_lt_u32 s60, s81                                      // 000000004774: BF0A513C
	s_cselect_b32 s83, s83, 0                                  // 000000004778: 85538053
	v_mfma_f32_16x16x32_fp8_fp8 v[48:51], a[38:39], a[14:15], v[48:51]// 00000000477C: D3F30030 1CC21D26
	s_add_u32 s24, s58, s24                                    // 000000004784: 8018183A
	s_addc_u32 s25, 0, s25                                     // 000000004788: 82191980
	v_mfma_f32_16x16x32_fp8_fp8 v[52:55], a[40:41], a[8:9], v[52:55]// 00000000478C: D3F30034 1CD21128
	buffer_load_dwordx4 a[20:23], v36, s[84:87], 0 offen offset:1024// 000000004794: E05C1400 80951424
	s_add_u32 s20, s57, s20                                    // 00000000479C: 80141439
	s_addc_u32 s21, 0, s21                                     // 0000000047A0: 82151580
	v_mfma_f32_16x16x32_fp8_fp8 v[52:55], a[42:43], a[10:11], v[52:55]// 0000000047A4: D3F30034 1CD2152A
	v_mfma_f32_16x16x32_fp8_fp8 v[52:55], a[44:45], a[12:13], v[52:55]// 0000000047AC: D3F30034 1CD2192C
	v_mfma_f32_16x16x32_fp8_fp8 v[52:55], a[46:47], a[14:15], v[52:55]// 0000000047B4: D3F30034 1CD21D2E
	buffer_load_dwordx4 a[24:27], v37, s[84:87], 0 offen       // 0000000047BC: E05C1000 80951825
	buffer_load_dwordx4 a[28:31], v37, s[84:87], 0 offen offset:1024// 0000000047C4: E05C1400 80951C25
	s_add_u32 s84, s83, s84                                    // 0000000047CC: 80545453
	s_addc_u32 s85, 0, s85                                     // 0000000047D0: 82555580
	s_addk_i32 s80, 0x80                                       // 0000000047D4: B7500080
	s_cmp_lt_i32 s80, s81                                      // 0000000047D8: BF045150
	s_cbranch_scc0 label_0822                                  // 0000000047DC: BF8400A7
	s_waitcnt vmcnt(6) lgkmcnt(0)                              // 0000000047E0: BF8C0076
	v_mfma_f32_16x16x32_fp8_fp8 v[40:43], a[48:49], a[0:1], v[40:43]// 0000000047E4: D3F30028 1CA20130
	buffer_load_dwordx4 a[32:35], v36, s[24:27], 0 offen       // 0000000047EC: E05C1000 80862024
	v_mfma_f32_16x16x32_fp8_fp8 v[40:43], a[50:51], a[2:3], v[40:43]// 0000000047F4: D3F30028 1CA20532
	v_mfma_f32_16x16x32_fp8_fp8 v[40:43], a[52:53], a[4:5], v[40:43]// 0000000047FC: D3F30028 1CA20934
	v_mfma_f32_16x16x32_fp8_fp8 v[40:43], a[54:55], a[6:7], v[40:43]// 000000004804: D3F30028 1CA20D36
	v_mfma_f32_16x16x32_fp8_fp8 v[44:47], a[56:57], a[0:1], v[44:47]// 00000000480C: D3F3002C 1CB20138
	buffer_load_dwordx4 a[36:39], v36, s[24:27], 0 offen offset:1024// 000000004814: E05C1400 80862424
	v_mfma_f32_16x16x32_fp8_fp8 v[44:47], a[58:59], a[2:3], v[44:47]// 00000000481C: D3F3002C 1CB2053A
	v_mfma_f32_16x16x32_fp8_fp8 v[44:47], a[60:61], a[4:5], v[44:47]// 000000004824: D3F3002C 1CB2093C
	v_mfma_f32_16x16x32_fp8_fp8 v[44:47], a[62:63], a[6:7], v[44:47]// 00000000482C: D3F3002C 1CB20D3E
	buffer_load_dwordx4 a[40:43], v37, s[24:27], 0 offen       // 000000004834: E05C1000 80862825
	buffer_load_dwordx4 a[44:47], v37, s[24:27], 0 offen offset:1024// 00000000483C: E05C1400 80862C25
	buffer_load_dword v34, s[20:23], 0 offen lds               // 000000004844: E0511000 80050022
	s_add_u32 m0, 0x100, s48                                   // 00000000484C: 807C30FF 00000100
	buffer_load_dword v35, s[20:23], 0 offen lds               // 000000004854: E0511000 80050023
	s_add_u32 m0, 0, s49                                       // 00000000485C: 807C3180
	s_waitcnt vmcnt(6)                                         // 000000004860: BF8C0F76
	s_barrier                                                  // 000000004864: BF8A0000
	v_mfma_f32_16x16x32_fp8_fp8 v[48:51], a[16:17], a[0:1], v[48:51]// 000000004868: D3F30030 1CC20110
	buffer_load_dwordx4 a[48:51], v36, s[84:87], 0 offen       // 000000004870: E05C1000 80953024
	s_add_u32 s60, 0x180, s80                                  // 000000004878: 803C50FF 00000180
	s_cmp_lt_u32 s60, s81                                      // 000000004880: BF0A513C
	s_cselect_b32 s57, s57, 0                                  // 000000004884: 85398039
	v_mfma_f32_16x16x32_fp8_fp8 v[48:51], a[18:19], a[2:3], v[48:51]// 000000004888: D3F30030 1CC20512
	s_add_u32 s60, 0x100, s80                                  // 000000004890: 803C50FF 00000100
	s_cmp_lt_u32 s60, s81                                      // 000000004898: BF0A513C
	s_cselect_b32 s58, s58, 0                                  // 00000000489C: 853A803A
	v_mfma_f32_16x16x32_fp8_fp8 v[48:51], a[20:21], a[4:5], v[48:51]// 0000000048A0: D3F30030 1CC20914
	ds_read_b128 a[8:11], v2 offset:4352                       // 0000000048A8: DBFE1100 08000002
	ds_read_b128 a[12:15], v2 offset:4416                      // 0000000048B0: DBFE1140 0C000002
	s_add_u32 s60, 0x100, s80                                  // 0000000048B8: 803C50FF 00000100
	s_cmp_lt_u32 s60, s81                                      // 0000000048C0: BF0A513C
	s_cselect_b32 s83, s83, 0                                  // 0000000048C4: 85538053
	v_mfma_f32_16x16x32_fp8_fp8 v[48:51], a[22:23], a[6:7], v[48:51]// 0000000048C8: D3F30030 1CC20D16
	s_add_u32 s24, s58, s24                                    // 0000000048D0: 8018183A
	s_addc_u32 s25, 0, s25                                     // 0000000048D4: 82191980
	v_mfma_f32_16x16x32_fp8_fp8 v[52:55], a[24:25], a[0:1], v[52:55]// 0000000048D8: D3F30034 1CD20118
	buffer_load_dwordx4 a[52:55], v36, s[84:87], 0 offen offset:1024// 0000000048E0: E05C1400 80953424
	s_add_u32 s20, s57, s20                                    // 0000000048E8: 80141439
	s_addc_u32 s21, 0, s21                                     // 0000000048EC: 82151580
	v_mfma_f32_16x16x32_fp8_fp8 v[52:55], a[26:27], a[2:3], v[52:55]// 0000000048F0: D3F30034 1CD2051A
	v_mfma_f32_16x16x32_fp8_fp8 v[52:55], a[28:29], a[4:5], v[52:55]// 0000000048F8: D3F30034 1CD2091C
	v_mfma_f32_16x16x32_fp8_fp8 v[52:55], a[30:31], a[6:7], v[52:55]// 000000004900: D3F30034 1CD20D1E
	buffer_load_dwordx4 a[56:59], v37, s[84:87], 0 offen       // 000000004908: E05C1000 80953825
	buffer_load_dwordx4 a[60:63], v37, s[84:87], 0 offen offset:1024// 000000004910: E05C1400 80953C25
	s_add_u32 s84, s83, s84                                    // 000000004918: 80545453
	s_addc_u32 s85, 0, s85                                     // 00000000491C: 82555580
	s_addk_i32 s80, 0x80                                       // 000000004920: B7500080
	s_cmp_lt_i32 s80, s81                                      // 000000004924: BF045150
	s_cbranch_scc0 label_0822                                  // 000000004928: BF840054
	s_waitcnt vmcnt(6) lgkmcnt(0)                              // 00000000492C: BF8C0076
	v_mfma_f32_16x16x32_fp8_fp8 v[40:43], a[32:33], a[8:9], v[40:43]// 000000004930: D3F30028 1CA21120
	buffer_load_dwordx4 a[16:19], v36, s[24:27], 0 offen       // 000000004938: E05C1000 80861024
	v_mfma_f32_16x16x32_fp8_fp8 v[40:43], a[34:35], a[10:11], v[40:43]// 000000004940: D3F30028 1CA21522
	v_mfma_f32_16x16x32_fp8_fp8 v[40:43], a[36:37], a[12:13], v[40:43]// 000000004948: D3F30028 1CA21924
	v_mfma_f32_16x16x32_fp8_fp8 v[40:43], a[38:39], a[14:15], v[40:43]// 000000004950: D3F30028 1CA21D26
	v_mfma_f32_16x16x32_fp8_fp8 v[44:47], a[40:41], a[8:9], v[44:47]// 000000004958: D3F3002C 1CB21128
	buffer_load_dwordx4 a[20:23], v36, s[24:27], 0 offen offset:1024// 000000004960: E05C1400 80861424
	v_mfma_f32_16x16x32_fp8_fp8 v[44:47], a[42:43], a[10:11], v[44:47]// 000000004968: D3F3002C 1CB2152A
	v_mfma_f32_16x16x32_fp8_fp8 v[44:47], a[44:45], a[12:13], v[44:47]// 000000004970: D3F3002C 1CB2192C
	v_mfma_f32_16x16x32_fp8_fp8 v[44:47], a[46:47], a[14:15], v[44:47]// 000000004978: D3F3002C 1CB21D2E
	buffer_load_dwordx4 a[24:27], v37, s[24:27], 0 offen       // 000000004980: E05C1000 80861825
	buffer_load_dwordx4 a[28:31], v37, s[24:27], 0 offen offset:1024// 000000004988: E05C1400 80861C25
	buffer_load_dword v34, s[20:23], 0 offen lds               // 000000004990: E0511000 80050022
	s_add_u32 m0, 0x100, s49                                   // 000000004998: 807C31FF 00000100
	buffer_load_dword v35, s[20:23], 0 offen lds               // 0000000049A0: E0511000 80050023
	s_add_u32 m0, 0, s50                                       // 0000000049A8: 807C3280
	s_waitcnt vmcnt(6)                                         // 0000000049AC: BF8C0F76
	s_barrier                                                  // 0000000049B0: BF8A0000
	v_mfma_f32_16x16x32_fp8_fp8 v[48:51], a[48:49], a[8:9], v[48:51]// 0000000049B4: D3F30030 1CC21130
	buffer_load_dwordx4 a[32:35], v36, s[84:87], 0 offen       // 0000000049BC: E05C1000 80952024
	s_add_u32 s60, 0x180, s80                                  // 0000000049C4: 803C50FF 00000180
	s_cmp_lt_u32 s60, s81                                      // 0000000049CC: BF0A513C
	s_cselect_b32 s57, s57, 0                                  // 0000000049D0: 85398039
	v_mfma_f32_16x16x32_fp8_fp8 v[48:51], a[50:51], a[10:11], v[48:51]// 0000000049D4: D3F30030 1CC21532
	s_add_u32 s60, 0x100, s80                                  // 0000000049DC: 803C50FF 00000100
	s_cmp_lt_u32 s60, s81                                      // 0000000049E4: BF0A513C
	s_cselect_b32 s58, s58, 0                                  // 0000000049E8: 853A803A
	v_mfma_f32_16x16x32_fp8_fp8 v[48:51], a[52:53], a[12:13], v[48:51]// 0000000049EC: D3F30030 1CC21934
	ds_read_b128 a[0:3], v2                                    // 0000000049F4: DBFE0000 00000002
	ds_read_b128 a[4:7], v2 offset:64                          // 0000000049FC: DBFE0040 04000002
	s_add_u32 s60, 0x100, s80                                  // 000000004A04: 803C50FF 00000100
	s_cmp_lt_u32 s60, s81                                      // 000000004A0C: BF0A513C
	s_cselect_b32 s83, s83, 0                                  // 000000004A10: 85538053
	v_mfma_f32_16x16x32_fp8_fp8 v[48:51], a[54:55], a[14:15], v[48:51]// 000000004A14: D3F30030 1CC21D36
	s_add_u32 s24, s58, s24                                    // 000000004A1C: 8018183A
	s_addc_u32 s25, 0, s25                                     // 000000004A20: 82191980
	v_mfma_f32_16x16x32_fp8_fp8 v[52:55], a[56:57], a[8:9], v[52:55]// 000000004A24: D3F30034 1CD21138
	buffer_load_dwordx4 a[36:39], v36, s[84:87], 0 offen offset:1024// 000000004A2C: E05C1400 80952424
	s_add_u32 s20, s57, s20                                    // 000000004A34: 80141439
	s_addc_u32 s21, 0, s21                                     // 000000004A38: 82151580
	v_mfma_f32_16x16x32_fp8_fp8 v[52:55], a[58:59], a[10:11], v[52:55]// 000000004A3C: D3F30034 1CD2153A
	v_mfma_f32_16x16x32_fp8_fp8 v[52:55], a[60:61], a[12:13], v[52:55]// 000000004A44: D3F30034 1CD2193C
	v_mfma_f32_16x16x32_fp8_fp8 v[52:55], a[62:63], a[14:15], v[52:55]// 000000004A4C: D3F30034 1CD21D3E
	buffer_load_dwordx4 a[40:43], v37, s[84:87], 0 offen       // 000000004A54: E05C1000 80952825
	buffer_load_dwordx4 a[44:47], v37, s[84:87], 0 offen offset:1024// 000000004A5C: E05C1400 80952C25
	s_add_u32 s84, s83, s84                                    // 000000004A64: 80545453
	s_addc_u32 s85, 0, s85                                     // 000000004A68: 82555580
	s_addk_i32 s80, 0x80                                       // 000000004A6C: B7500080
	s_cmp_lt_i32 s80, s81                                      // 000000004A70: BF045150
	s_cbranch_scc0 label_0822                                  // 000000004A74: BF840001
	s_branch label_062F                                        // 000000004A78: BF82FE0D

0000000000004a7c <label_0822>:
	v_mul_f32_dpp v40, v24, v40 row_newbcast:0 row_mask:0xf bank_mask:0xf// 000000004A7C: 0A5050FA FF015018
	v_mul_f32_dpp v41, v24, v41 row_newbcast:1 row_mask:0xf bank_mask:0xf// 000000004A84: 0A5252FA FF015118
	v_mul_f32_dpp v42, v24, v42 row_newbcast:2 row_mask:0xf bank_mask:0xf// 000000004A8C: 0A5454FA FF015218
	v_mul_f32_dpp v43, v24, v43 row_newbcast:3 row_mask:0xf bank_mask:0xf// 000000004A94: 0A5656FA FF015318
	v_mul_f32_dpp v44, v24, v44 row_newbcast:4 row_mask:0xf bank_mask:0xf// 000000004A9C: 0A5858FA FF015418
	v_mul_f32_dpp v45, v24, v45 row_newbcast:5 row_mask:0xf bank_mask:0xf// 000000004AA4: 0A5A5AFA FF015518
	v_mul_f32_dpp v46, v24, v46 row_newbcast:6 row_mask:0xf bank_mask:0xf// 000000004AAC: 0A5C5CFA FF015618
	v_mul_f32_dpp v47, v24, v47 row_newbcast:7 row_mask:0xf bank_mask:0xf// 000000004AB4: 0A5E5EFA FF015718
	v_mul_f32_dpp v48, v27, v48 row_newbcast:0 row_mask:0xf bank_mask:0xf// 000000004ABC: 0A6060FA FF01501B
	v_mul_f32_dpp v49, v27, v49 row_newbcast:1 row_mask:0xf bank_mask:0xf// 000000004AC4: 0A6262FA FF01511B
	v_mul_f32_dpp v50, v27, v50 row_newbcast:2 row_mask:0xf bank_mask:0xf// 000000004ACC: 0A6464FA FF01521B
	v_mul_f32_dpp v51, v27, v51 row_newbcast:3 row_mask:0xf bank_mask:0xf// 000000004AD4: 0A6666FA FF01531B
	v_mul_f32_dpp v52, v27, v52 row_newbcast:4 row_mask:0xf bank_mask:0xf// 000000004ADC: 0A6868FA FF01541B
	v_mul_f32_dpp v53, v27, v53 row_newbcast:5 row_mask:0xf bank_mask:0xf// 000000004AE4: 0A6A6AFA FF01551B
	v_mul_f32_dpp v54, v27, v54 row_newbcast:6 row_mask:0xf bank_mask:0xf// 000000004AEC: 0A6C6CFA FF01561B
	v_mul_f32_dpp v55, v27, v55 row_newbcast:7 row_mask:0xf bank_mask:0xf// 000000004AF4: 0A6E6EFA FF01571B
	v_mul_f32_e32 v31, v31, v56                                // 000000004AFC: 0A3E711F
	v_mov_b32_e32 v4, v31                                      // 000000004B00: 7E08031F
	v_mov_b32_e32 v5, v4                                       // 000000004B04: 7E0A0304
	v_pk_mul_f32 v[40:41], v[4:5], v[40:41]                    // 000000004B08: D3B14028 18025104
	v_pk_mul_f32 v[48:49], v[4:5], v[48:49]                    // 000000004B10: D3B14030 18026104
	v_pk_mul_f32 v[42:43], v[4:5], v[42:43]                    // 000000004B18: D3B1402A 18025504
	v_pk_mul_f32 v[50:51], v[4:5], v[50:51]                    // 000000004B20: D3B14032 18026504
	v_pk_mul_f32 v[44:45], v[4:5], v[44:45]                    // 000000004B28: D3B1402C 18025904
	v_pk_mul_f32 v[52:53], v[4:5], v[52:53]                    // 000000004B30: D3B14034 18026904
	v_pk_mul_f32 v[46:47], v[4:5], v[46:47]                    // 000000004B38: D3B1402E 18025D04
	v_pk_mul_f32 v[54:55], v[4:5], v[54:55]                    // 000000004B40: D3B14036 18026D04
	s_cmp_eq_u32 s88, 0                                        // 000000004B48: BF068058
	s_cbranch_scc0 label_09A0                                  // 000000004B4C: BF840149
	s_cmp_eq_u32 s89, 0                                        // 000000004B50: BF068059
	s_cbranch_scc1 label_08AE                                  // 000000004B54: BF850055
	v_mov_b32_e32 v8, v1                                       // 000000004B58: 7E100301
	v_mov_b32_e32 v9, v1                                       // 000000004B5C: 7E120301
	s_mov_b32 s60, s6                                          // 000000004B60: BEBC0006
	s_mov_b32 s61, s6                                          // 000000004B64: BEBD0006
	v_pk_mul_f32 v[4:5], v[40:41], v[40:41]                    // 000000004B68: D3B14004 18025128
	v_pk_mul_f32 v[6:7], v[42:43], v[42:43]                    // 000000004B70: D3B14006 1802552A
	v_pk_fma_f32 v[4:5], v[4:5], s[78:79], v[8:9]              // 000000004B78: D3B04004 1C209D04
	v_pk_fma_f32 v[6:7], v[6:7], s[78:79], v[8:9]              // 000000004B80: D3B04006 1C209D06
	v_pk_mul_f32 v[4:5], v[4:5], v[40:41]                      // 000000004B88: D3B14004 18025104
	v_pk_mul_f32 v[6:7], v[6:7], v[42:43]                      // 000000004B90: D3B14006 18025506
	v_pk_mul_f32 v[4:5], v[4:5], s[60:61]                      // 000000004B98: D3B14004 18007904
	v_pk_mul_f32 v[6:7], v[6:7], s[60:61]                      // 000000004BA0: D3B14006 18007906
	v_exp_f32_e32 v4, v4                                       // 000000004BA8: 7E084104
	v_exp_f32_e32 v5, v5                                       // 000000004BAC: 7E0A4105
	v_exp_f32_e32 v6, v6                                       // 000000004BB0: 7E0C4106
	v_exp_f32_e32 v7, v7                                       // 000000004BB4: 7E0E4107
	v_add_f32_e64 v4, v4, 1.0                                  // 000000004BB8: D1010004 0001E504
	v_add_f32_e64 v5, v5, 1.0                                  // 000000004BC0: D1010005 0001E505
	v_add_f32_e64 v6, v6, 1.0                                  // 000000004BC8: D1010006 0001E506
	v_add_f32_e64 v7, v7, 1.0                                  // 000000004BD0: D1010007 0001E507
	v_rcp_f32_e32 v4, v4                                       // 000000004BD8: 7E084504
	v_rcp_f32_e32 v5, v5                                       // 000000004BDC: 7E0A4505
	v_rcp_f32_e32 v6, v6                                       // 000000004BE0: 7E0C4506
	v_rcp_f32_e32 v7, v7                                       // 000000004BE4: 7E0E4507
	v_mul_f32_e32 v40, v40, v4                                 // 000000004BE8: 0A500928
	v_mul_f32_e32 v41, v41, v5                                 // 000000004BEC: 0A520B29
	v_mul_f32_e32 v42, v42, v6                                 // 000000004BF0: 0A540D2A
	v_mul_f32_e32 v43, v43, v7                                 // 000000004BF4: 0A560F2B
	v_mul_f32_e32 v40, v40, v48                                // 000000004BF8: 0A506128
	v_mul_f32_e32 v41, v41, v49                                // 000000004BFC: 0A526329
	v_mul_f32_e32 v42, v42, v50                                // 000000004C00: 0A54652A
	v_mul_f32_e32 v43, v43, v51                                // 000000004C04: 0A56672B
	v_pk_mul_f32 v[4:5], v[44:45], v[44:45]                    // 000000004C08: D3B14004 1802592C
	v_pk_mul_f32 v[6:7], v[46:47], v[46:47]                    // 000000004C10: D3B14006 18025D2E
	v_pk_fma_f32 v[4:5], v[4:5], s[78:79], v[8:9]              // 000000004C18: D3B04004 1C209D04
	v_pk_fma_f32 v[6:7], v[6:7], s[78:79], v[8:9]              // 000000004C20: D3B04006 1C209D06
	v_pk_mul_f32 v[4:5], v[4:5], v[44:45]                      // 000000004C28: D3B14004 18025904
	v_pk_mul_f32 v[6:7], v[6:7], v[46:47]                      // 000000004C30: D3B14006 18025D06
	v_pk_mul_f32 v[4:5], v[4:5], s[60:61]                      // 000000004C38: D3B14004 18007904
	v_pk_mul_f32 v[6:7], v[6:7], s[60:61]                      // 000000004C40: D3B14006 18007906
	v_exp_f32_e32 v4, v4                                       // 000000004C48: 7E084104
	v_exp_f32_e32 v5, v5                                       // 000000004C4C: 7E0A4105
	v_exp_f32_e32 v6, v6                                       // 000000004C50: 7E0C4106
	v_exp_f32_e32 v7, v7                                       // 000000004C54: 7E0E4107
	v_add_f32_e64 v4, v4, 1.0                                  // 000000004C58: D1010004 0001E504
	v_add_f32_e64 v5, v5, 1.0                                  // 000000004C60: D1010005 0001E505
	v_add_f32_e64 v6, v6, 1.0                                  // 000000004C68: D1010006 0001E506
	v_add_f32_e64 v7, v7, 1.0                                  // 000000004C70: D1010007 0001E507
	v_rcp_f32_e32 v4, v4                                       // 000000004C78: 7E084504
	v_rcp_f32_e32 v5, v5                                       // 000000004C7C: 7E0A4505
	v_rcp_f32_e32 v6, v6                                       // 000000004C80: 7E0C4506
	v_rcp_f32_e32 v7, v7                                       // 000000004C84: 7E0E4507
	v_mul_f32_e32 v44, v44, v4                                 // 000000004C88: 0A58092C
	v_mul_f32_e32 v45, v45, v5                                 // 000000004C8C: 0A5A0B2D
	v_mul_f32_e32 v46, v46, v6                                 // 000000004C90: 0A5C0D2E
	v_mul_f32_e32 v47, v47, v7                                 // 000000004C94: 0A5E0F2F
	v_mul_f32_e32 v44, v44, v52                                // 000000004C98: 0A58692C
	v_mul_f32_e32 v45, v45, v53                                // 000000004C9C: 0A5A6B2D
	v_mul_f32_e32 v46, v46, v54                                // 000000004CA0: 0A5C6D2E
	v_mul_f32_e32 v47, v47, v55                                // 000000004CA4: 0A5E6F2F
	s_branch label_08EE                                        // 000000004CA8: BF820040

0000000000004cac <label_08AE>:
	v_mul_f32_e64 v4, -v40, s6                                 // 000000004CAC: D1050004 20000D28
	v_mul_f32_e64 v5, -v41, s6                                 // 000000004CB4: D1050005 20000D29
	v_mul_f32_e64 v6, -v42, s6                                 // 000000004CBC: D1050006 20000D2A
	v_mul_f32_e64 v7, -v43, s6                                 // 000000004CC4: D1050007 20000D2B
	v_exp_f32_e32 v4, v4                                       // 000000004CCC: 7E084104
	v_exp_f32_e32 v5, v5                                       // 000000004CD0: 7E0A4105
	v_exp_f32_e32 v6, v6                                       // 000000004CD4: 7E0C4106
	v_exp_f32_e32 v7, v7                                       // 000000004CD8: 7E0E4107
	v_add_f32_e64 v4, v4, 1.0                                  // 000000004CDC: D1010004 0001E504
	v_add_f32_e64 v5, v5, 1.0                                  // 000000004CE4: D1010005 0001E505
	v_add_f32_e64 v6, v6, 1.0                                  // 000000004CEC: D1010006 0001E506
	v_add_f32_e64 v7, v7, 1.0                                  // 000000004CF4: D1010007 0001E507
	v_rcp_f32_e32 v4, v4                                       // 000000004CFC: 7E084504
	v_rcp_f32_e32 v5, v5                                       // 000000004D00: 7E0A4505
	v_rcp_f32_e32 v6, v6                                       // 000000004D04: 7E0C4506
	v_rcp_f32_e32 v7, v7                                       // 000000004D08: 7E0E4507
	v_mul_f32_e32 v40, v40, v4                                 // 000000004D0C: 0A500928
	v_mul_f32_e32 v41, v41, v5                                 // 000000004D10: 0A520B29
	v_mul_f32_e32 v42, v42, v6                                 // 000000004D14: 0A540D2A
	v_mul_f32_e32 v43, v43, v7                                 // 000000004D18: 0A560F2B
	v_mul_f32_e32 v40, v40, v48                                // 000000004D1C: 0A506128
	v_mul_f32_e32 v41, v41, v49                                // 000000004D20: 0A526329
	v_mul_f32_e32 v42, v42, v50                                // 000000004D24: 0A54652A
	v_mul_f32_e32 v43, v43, v51                                // 000000004D28: 0A56672B
	v_mul_f32_e64 v4, -v44, s6                                 // 000000004D2C: D1050004 20000D2C
	v_mul_f32_e64 v5, -v45, s6                                 // 000000004D34: D1050005 20000D2D
	v_mul_f32_e64 v6, -v46, s6                                 // 000000004D3C: D1050006 20000D2E
	v_mul_f32_e64 v7, -v47, s6                                 // 000000004D44: D1050007 20000D2F
	v_exp_f32_e32 v4, v4                                       // 000000004D4C: 7E084104
	v_exp_f32_e32 v5, v5                                       // 000000004D50: 7E0A4105
	v_exp_f32_e32 v6, v6                                       // 000000004D54: 7E0C4106
	v_exp_f32_e32 v7, v7                                       // 000000004D58: 7E0E4107
	v_add_f32_e64 v4, v4, 1.0                                  // 000000004D5C: D1010004 0001E504
	v_add_f32_e64 v5, v5, 1.0                                  // 000000004D64: D1010005 0001E505
	v_add_f32_e64 v6, v6, 1.0                                  // 000000004D6C: D1010006 0001E506
	v_add_f32_e64 v7, v7, 1.0                                  // 000000004D74: D1010007 0001E507
	v_rcp_f32_e32 v4, v4                                       // 000000004D7C: 7E084504
	v_rcp_f32_e32 v5, v5                                       // 000000004D80: 7E0A4505
	v_rcp_f32_e32 v6, v6                                       // 000000004D84: 7E0C4506
	v_rcp_f32_e32 v7, v7                                       // 000000004D88: 7E0E4507
	v_mul_f32_e32 v44, v44, v4                                 // 000000004D8C: 0A58092C
	v_mul_f32_e32 v45, v45, v5                                 // 000000004D90: 0A5A0B2D
	v_mul_f32_e32 v46, v46, v6                                 // 000000004D94: 0A5C0D2E
	v_mul_f32_e32 v47, v47, v7                                 // 000000004D98: 0A5E0F2F
	v_mul_f32_e32 v44, v44, v52                                // 000000004D9C: 0A58692C
	v_mul_f32_e32 v45, v45, v53                                // 000000004DA0: 0A5A6B2D
	v_mul_f32_e32 v46, v46, v54                                // 000000004DA4: 0A5C6D2E
	v_mul_f32_e32 v47, v47, v55                                // 000000004DA8: 0A5E6F2F

0000000000004dac <label_08EE>:
	v_cmp_u_f32_e64 s[46:47], v40, v40                         // 000000004DAC: D048002E 00025128
	v_add3_u32 v16, v40, v19, 1                                // 000000004DB4: D1FF0010 02062728
	v_cndmask_b32_e64 v4, v16, v18, s[46:47]                   // 000000004DBC: D1000004 00BA2510
	v_cmp_u_f32_e64 s[46:47], v41, v41                         // 000000004DC4: D048002E 00025329
	v_add3_u32 v16, v41, v19, 1                                // 000000004DCC: D1FF0010 02062729
	v_cndmask_b32_e64 v5, v16, v18, s[46:47]                   // 000000004DD4: D1000005 00BA2510
	v_perm_b32 v40, v5, v4, s52                                // 000000004DDC: D1ED0028 00D20905
	v_cmp_u_f32_e64 s[46:47], v42, v42                         // 000000004DE4: D048002E 0002552A
	v_add3_u32 v16, v42, v19, 1                                // 000000004DEC: D1FF0010 0206272A
	v_cndmask_b32_e64 v4, v16, v18, s[46:47]                   // 000000004DF4: D1000004 00BA2510
	v_cmp_u_f32_e64 s[46:47], v43, v43                         // 000000004DFC: D048002E 0002572B
	v_add3_u32 v16, v43, v19, 1                                // 000000004E04: D1FF0010 0206272B
	v_cndmask_b32_e64 v5, v16, v18, s[46:47]                   // 000000004E0C: D1000005 00BA2510
	v_perm_b32 v41, v5, v4, s52                                // 000000004E14: D1ED0029 00D20905
	v_cmp_u_f32_e64 s[46:47], v44, v44                         // 000000004E1C: D048002E 0002592C
	v_add3_u32 v16, v44, v19, 1                                // 000000004E24: D1FF0010 0206272C
	v_cndmask_b32_e64 v4, v16, v18, s[46:47]                   // 000000004E2C: D1000004 00BA2510
	v_cmp_u_f32_e64 s[46:47], v45, v45                         // 000000004E34: D048002E 00025B2D
	v_add3_u32 v16, v45, v19, 1                                // 000000004E3C: D1FF0010 0206272D
	v_cndmask_b32_e64 v5, v16, v18, s[46:47]                   // 000000004E44: D1000005 00BA2510
	v_perm_b32 v42, v5, v4, s52                                // 000000004E4C: D1ED002A 00D20905
	v_cmp_u_f32_e64 s[46:47], v46, v46                         // 000000004E54: D048002E 00025D2E
	v_add3_u32 v16, v46, v19, 1                                // 000000004E5C: D1FF0010 0206272E
	v_cndmask_b32_e64 v4, v16, v18, s[46:47]                   // 000000004E64: D1000004 00BA2510
	v_cmp_u_f32_e64 s[46:47], v47, v47                         // 000000004E6C: D048002E 00025F2F
	v_add3_u32 v16, v47, v19, 1                                // 000000004E74: D1FF0010 0206272F
	v_cndmask_b32_e64 v5, v16, v18, s[46:47]                   // 000000004E7C: D1000005 00BA2510
	v_perm_b32 v43, v5, v4, s52                                // 000000004E84: D1ED002B 00D20905
	ds_write_b64 v20, v[40:41]                                 // 000000004E8C: D89A0000 00002814
	ds_write_b64 v20, v[42:43] offset:2176                     // 000000004E94: D89A0880 00002A14
	v_lshrrev_b32_e32 v4, 5, v0                                // 000000004E9C: 20080085
	v_xor_b32_e32 v5, 1, v4                                    // 000000004EA0: 2A0A0881
	s_mul_i32 s60, s65, 2                                      // 000000004EA4: 923C8241
	s_cmp_eq_u32 s88, 0                                        // 000000004EA8: BF068058
	s_cselect_b32 s61, 1, 4                                    // 000000004EAC: 853D8481
	s_mul_i32 s60, s61, s60                                    // 000000004EB0: 923C3C3D
	v_readlane_b32 s82, v3, 0                                  // 000000004EB4: D2890052 00010103
	s_lshr_b32 s61, s82, 24                                    // 000000004EBC: 8F3D9852
	s_and_b32 s82, s82, 0xffffff                               // 000000004EC0: 8652FF52 00FFFFFF
	s_mul_i32 s82, s82, s71                                    // 000000004EC8: 92524752
	s_mul_i32 s61, s60, s61                                    // 000000004ECC: 923D3D3C
	s_add_u32 s82, s82, s61                                    // 000000004ED0: 80523D52
	v_mul_lo_u32 v6, v5, s82                                   // 000000004ED4: D2850006 0000A505
	v_readlane_b32 s82, v3, 1                                  // 000000004EDC: D2890052 00010303
	s_lshr_b32 s61, s82, 24                                    // 000000004EE4: 8F3D9852
	s_and_b32 s82, s82, 0xffffff                               // 000000004EE8: 8652FF52 00FFFFFF
	s_mul_i32 s82, s82, s71                                    // 000000004EF0: 92524752
	s_mul_i32 s61, s60, s61                                    // 000000004EF4: 923D3D3C
	s_add_u32 s82, s82, s61                                    // 000000004EF8: 80523D52
	v_mul_lo_u32 v7, v4, s82                                   // 000000004EFC: D2850007 0000A504
	v_add_u32_e32 v34, v6, v7                                  // 000000004F04: 68440F06
	v_readlane_b32 s82, v3, 2                                  // 000000004F08: D2890052 00010503
	s_lshr_b32 s61, s82, 24                                    // 000000004F10: 8F3D9852
	s_and_b32 s82, s82, 0xffffff                               // 000000004F14: 8652FF52 00FFFFFF
	s_mul_i32 s82, s82, s71                                    // 000000004F1C: 92524752
	s_mul_i32 s61, s60, s61                                    // 000000004F20: 923D3D3C
	s_add_u32 s82, s82, s61                                    // 000000004F24: 80523D52
	v_mul_lo_u32 v6, v5, s82                                   // 000000004F28: D2850006 0000A505
	v_readlane_b32 s82, v3, 3                                  // 000000004F30: D2890052 00010703
	s_lshr_b32 s61, s82, 24                                    // 000000004F38: 8F3D9852
	s_and_b32 s82, s82, 0xffffff                               // 000000004F3C: 8652FF52 00FFFFFF
	s_mul_i32 s82, s82, s71                                    // 000000004F44: 92524752
	s_mul_i32 s61, s60, s61                                    // 000000004F48: 923D3D3C
	s_add_u32 s82, s82, s61                                    // 000000004F4C: 80523D52
	v_mul_lo_u32 v7, v4, s82                                   // 000000004F50: D2850007 0000A504
	v_add_u32_e32 v35, v6, v7                                  // 000000004F58: 68460F06
	v_and_b32_e32 v4, 31, v0                                   // 000000004F5C: 2608009F
	v_lshrrev_b32_e32 v4, 1, v4                                // 000000004F60: 20080881
	s_cmp_eq_u32 s88, 0                                        // 000000004F64: BF068058
	s_cselect_b32 s61, 2, 4                                    // 000000004F68: 853D8482
	v_mul_lo_u32 v4, v4, s61                                   // 000000004F6C: D2850004 00007B04
	v_and_b32_e64 v5, v0, 1                                    // 000000004F74: D1130005 00010300
	v_add_u32_e32 v4, v4, v5                                   // 000000004F7C: 68080B04
	v_lshlrev_b32_e32 v4, 2, v4                                // 000000004F80: 24080882
	v_add_u32_e32 v34, v34, v4                                 // 000000004F84: 68440922
	v_add_u32_e32 v35, v35, v4                                 // 000000004F88: 68460923
	s_waitcnt lgkmcnt(0)                                       // 000000004F8C: BF8CC07F
	s_barrier                                                  // 000000004F90: BF8A0000
	ds_read_b32 v40, v21                                       // 000000004F94: D86C0000 28000015
	ds_read_b32 v41, v21 offset:64                             // 000000004F9C: D86C0040 29000015
	ds_read_b32 v42, v21 offset:2176                           // 000000004FA4: D86C0880 2A000015
	ds_read_b32 v43, v21 offset:2240                           // 000000004FAC: D86C08C0 2B000015
	s_waitcnt lgkmcnt(0)                                       // 000000004FB4: BF8CC07F
	s_mov_b32 s36, -1                                          // 000000004FB8: BEA400C1
	s_mov_b32 s37, -1                                          // 000000004FBC: BEA500C1
	v_mov_b32_e32 v7, 0                                        // 000000004FC0: 7E0E0280
	s_or_b32 s9, s9, 0x40000                                   // 000000004FC4: 8709FF09 00040000
	s_mov_b64 exec, s[36:37]                                   // 000000004FCC: BEFE0124
	v_mov_b32_e32 v6, v34                                      // 000000004FD0: 7E0C0322
	s_mov_b64 s[60:61], 0                                      // 000000004FD4: BEBC0180
	v_readlane_b32 s82, v3, 0                                  // 000000004FD8: D2890052 00010103
	s_and_b32 s82, s82, 0xffffff                               // 000000004FE0: 8652FF52 00FFFFFF
	s_cmp_lt_u32 s82, s66                                      // 000000004FE8: BF0A4252
	s_cselect_b32 s20, s36, s60                                // 000000004FEC: 85143C24
	v_readlane_b32 s82, v3, 1                                  // 000000004FF0: D2890052 00010303
	s_and_b32 s82, s82, 0xffffff                               // 000000004FF8: 8652FF52 00FFFFFF
	s_cmp_lt_u32 s82, s66                                      // 000000005000: BF0A4252
	s_cselect_b32 s21, s36, s60                                // 000000005004: 85153C24
	s_mov_b64 exec, s[20:21]                                   // 000000005008: BEFE0114
	buffer_store_dword v40, v6, s[8:11], 0 offen               // 00000000500C: E0701000 80022806
	buffer_store_dword v42, v6, s[8:11], 0 offen offset:128    // 000000005014: E0701080 80022A06
	s_mov_b64 exec, s[36:37]                                   // 00000000501C: BEFE0124
	v_mov_b32_e32 v6, v35                                      // 000000005020: 7E0C0323
	s_mov_b64 s[60:61], 0                                      // 000000005024: BEBC0180
	v_readlane_b32 s82, v3, 2                                  // 000000005028: D2890052 00010503
	s_and_b32 s82, s82, 0xffffff                               // 000000005030: 8652FF52 00FFFFFF
	s_cmp_lt_u32 s82, s66                                      // 000000005038: BF0A4252
	s_cselect_b32 s20, s36, s60                                // 00000000503C: 85143C24
	v_readlane_b32 s82, v3, 3                                  // 000000005040: D2890052 00010703
	s_and_b32 s82, s82, 0xffffff                               // 000000005048: 8652FF52 00FFFFFF
	s_cmp_lt_u32 s82, s66                                      // 000000005050: BF0A4252
	s_cselect_b32 s21, s36, s60                                // 000000005054: 85153C24
	s_mov_b64 exec, s[20:21]                                   // 000000005058: BEFE0114
	buffer_store_dword v41, v6, s[8:11], 0 offen               // 00000000505C: E0701000 80022906
	buffer_store_dword v43, v6, s[8:11], 0 offen offset:128    // 000000005064: E0701080 80022B06
	s_mov_b64 exec, s[36:37]                                   // 00000000506C: BEFE0124
	s_branch label_0AC6                                        // 000000005070: BF820126

0000000000005074 <label_09A0>:
	ds_write_b64 v20, v[40:41]                                 // 000000005074: D89A0000 00002814
	ds_write_b64 v20, v[44:45] offset:2176                     // 00000000507C: D89A0880 00002C14
	v_lshrrev_b32_e32 v4, 5, v0                                // 000000005084: 20080085
	v_xor_b32_e32 v5, 1, v4                                    // 000000005088: 2A0A0881
	s_mul_i32 s60, s65, 2                                      // 00000000508C: 923C8241
	s_cmp_eq_u32 s88, 0                                        // 000000005090: BF068058
	s_cselect_b32 s61, 1, 4                                    // 000000005094: 853D8481
	s_mul_i32 s60, s61, s60                                    // 000000005098: 923C3C3D
	v_readlane_b32 s82, v3, 0                                  // 00000000509C: D2890052 00010103
	s_lshr_b32 s61, s82, 24                                    // 0000000050A4: 8F3D9852
	s_and_b32 s82, s82, 0xffffff                               // 0000000050A8: 8652FF52 00FFFFFF
	s_mul_i32 s82, s82, s71                                    // 0000000050B0: 92524752
	s_mul_i32 s61, s60, s61                                    // 0000000050B4: 923D3D3C
	s_add_u32 s82, s82, s61                                    // 0000000050B8: 80523D52
	v_mul_lo_u32 v6, v5, s82                                   // 0000000050BC: D2850006 0000A505
	v_readlane_b32 s82, v3, 1                                  // 0000000050C4: D2890052 00010303
	s_lshr_b32 s61, s82, 24                                    // 0000000050CC: 8F3D9852
	s_and_b32 s82, s82, 0xffffff                               // 0000000050D0: 8652FF52 00FFFFFF
	s_mul_i32 s82, s82, s71                                    // 0000000050D8: 92524752
	s_mul_i32 s61, s60, s61                                    // 0000000050DC: 923D3D3C
	s_add_u32 s82, s82, s61                                    // 0000000050E0: 80523D52
	v_mul_lo_u32 v7, v4, s82                                   // 0000000050E4: D2850007 0000A504
	v_add_u32_e32 v34, v6, v7                                  // 0000000050EC: 68440F06
	v_readlane_b32 s82, v3, 2                                  // 0000000050F0: D2890052 00010503
	s_lshr_b32 s61, s82, 24                                    // 0000000050F8: 8F3D9852
	s_and_b32 s82, s82, 0xffffff                               // 0000000050FC: 8652FF52 00FFFFFF
	s_mul_i32 s82, s82, s71                                    // 000000005104: 92524752
	s_mul_i32 s61, s60, s61                                    // 000000005108: 923D3D3C
	s_add_u32 s82, s82, s61                                    // 00000000510C: 80523D52
	v_mul_lo_u32 v6, v5, s82                                   // 000000005110: D2850006 0000A505
	v_readlane_b32 s82, v3, 3                                  // 000000005118: D2890052 00010703
	s_lshr_b32 s61, s82, 24                                    // 000000005120: 8F3D9852
	s_and_b32 s82, s82, 0xffffff                               // 000000005124: 8652FF52 00FFFFFF
	s_mul_i32 s82, s82, s71                                    // 00000000512C: 92524752
	s_mul_i32 s61, s60, s61                                    // 000000005130: 923D3D3C
	s_add_u32 s82, s82, s61                                    // 000000005134: 80523D52
	v_mul_lo_u32 v7, v4, s82                                   // 000000005138: D2850007 0000A504
	v_add_u32_e32 v35, v6, v7                                  // 000000005140: 68460F06
	v_and_b32_e32 v4, 31, v0                                   // 000000005144: 2608009F
	v_lshrrev_b32_e32 v4, 1, v4                                // 000000005148: 20080881
	s_cmp_eq_u32 s88, 0                                        // 00000000514C: BF068058
	s_cselect_b32 s61, 2, 4                                    // 000000005150: 853D8482
	v_mul_lo_u32 v4, v4, s61                                   // 000000005154: D2850004 00007B04
	v_and_b32_e64 v5, v0, 1                                    // 00000000515C: D1130005 00010300
	v_add_u32_e32 v4, v4, v5                                   // 000000005164: 68080B04
	v_lshlrev_b32_e32 v4, 2, v4                                // 000000005168: 24080882
	v_add_u32_e32 v34, v34, v4                                 // 00000000516C: 68440922
	v_add_u32_e32 v35, v35, v4                                 // 000000005170: 68460923
	s_waitcnt lgkmcnt(0)                                       // 000000005174: BF8CC07F
	s_barrier                                                  // 000000005178: BF8A0000
	ds_read_b32 v40, v21                                       // 00000000517C: D86C0000 28000015
	ds_read_b32 v41, v21 offset:64                             // 000000005184: D86C0040 29000015
	ds_read_b32 v44, v21 offset:2176                           // 00000000518C: D86C0880 2C000015
	ds_read_b32 v45, v21 offset:2240                           // 000000005194: D86C08C0 2D000015
	s_waitcnt lgkmcnt(0)                                       // 00000000519C: BF8CC07F
	s_mov_b32 s36, -1                                          // 0000000051A0: BEA400C1
	s_mov_b32 s37, -1                                          // 0000000051A4: BEA500C1
	v_mov_b32_e32 v7, 0                                        // 0000000051A8: 7E0E0280
	s_mov_b64 exec, s[36:37]                                   // 0000000051AC: BEFE0124
	v_mov_b32_e32 v6, v34                                      // 0000000051B0: 7E0C0322
	s_mov_b64 s[60:61], 0                                      // 0000000051B4: BEBC0180
	v_readlane_b32 s82, v3, 0                                  // 0000000051B8: D2890052 00010103
	s_and_b32 s82, s82, 0xffffff                               // 0000000051C0: 8652FF52 00FFFFFF
	s_cmp_lt_u32 s82, s66                                      // 0000000051C8: BF0A4252
	s_cselect_b32 s20, s36, s60                                // 0000000051CC: 85143C24
	v_readlane_b32 s82, v3, 1                                  // 0000000051D0: D2890052 00010303
	s_and_b32 s82, s82, 0xffffff                               // 0000000051D8: 8652FF52 00FFFFFF
	s_cmp_lt_u32 s82, s66                                      // 0000000051E0: BF0A4252
	s_cselect_b32 s21, s36, s60                                // 0000000051E4: 85153C24
	s_mov_b64 exec, s[20:21]                                   // 0000000051E8: BEFE0114
	global_atomic_add_f32 v6, v40, s[8:9]                      // 0000000051EC: DD348000 00082806
	global_atomic_add_f32 v6, v44, s[8:9] offset:256           // 0000000051F4: DD348100 00082C06
	s_mov_b64 exec, s[36:37]                                   // 0000000051FC: BEFE0124
	v_mov_b32_e32 v6, v35                                      // 000000005200: 7E0C0323
	s_mov_b64 s[60:61], 0                                      // 000000005204: BEBC0180
	v_readlane_b32 s82, v3, 2                                  // 000000005208: D2890052 00010503
	s_and_b32 s82, s82, 0xffffff                               // 000000005210: 8652FF52 00FFFFFF
	s_cmp_lt_u32 s82, s66                                      // 000000005218: BF0A4252
	s_cselect_b32 s20, s36, s60                                // 00000000521C: 85143C24
	v_readlane_b32 s82, v3, 3                                  // 000000005220: D2890052 00010703
	s_and_b32 s82, s82, 0xffffff                               // 000000005228: 8652FF52 00FFFFFF
	s_cmp_lt_u32 s82, s66                                      // 000000005230: BF0A4252
	s_cselect_b32 s21, s36, s60                                // 000000005234: 85153C24
	s_mov_b64 exec, s[20:21]                                   // 000000005238: BEFE0114
	global_atomic_add_f32 v6, v41, s[8:9]                      // 00000000523C: DD348000 00082906
	global_atomic_add_f32 v6, v45, s[8:9] offset:256           // 000000005244: DD348100 00082D06
	s_mov_b64 exec, s[36:37]                                   // 00000000524C: BEFE0124
	ds_write_b64 v20, v[42:43]                                 // 000000005250: D89A0000 00002A14
	ds_write_b64 v20, v[46:47] offset:2176                     // 000000005258: D89A0880 00002E14
	s_waitcnt lgkmcnt(0)                                       // 000000005260: BF8CC07F
	s_barrier                                                  // 000000005264: BF8A0000
	ds_read_b32 v42, v21                                       // 000000005268: D86C0000 2A000015
	ds_read_b32 v43, v21 offset:64                             // 000000005270: D86C0040 2B000015
	ds_read_b32 v46, v21 offset:2176                           // 000000005278: D86C0880 2E000015
	ds_read_b32 v47, v21 offset:2240                           // 000000005280: D86C08C0 2F000015
	s_waitcnt lgkmcnt(0)                                       // 000000005288: BF8CC07F
	v_mov_b32_e32 v7, 0                                        // 00000000528C: 7E0E0280
	s_mov_b64 exec, s[36:37]                                   // 000000005290: BEFE0124
	v_mov_b32_e32 v6, v34                                      // 000000005294: 7E0C0322
	s_mov_b64 s[60:61], 0                                      // 000000005298: BEBC0180
	v_readlane_b32 s82, v3, 0                                  // 00000000529C: D2890052 00010103
	s_and_b32 s82, s82, 0xffffff                               // 0000000052A4: 8652FF52 00FFFFFF
	s_cmp_lt_u32 s82, s66                                      // 0000000052AC: BF0A4252
	s_cselect_b32 s20, s36, s60                                // 0000000052B0: 85143C24
	v_readlane_b32 s82, v3, 1                                  // 0000000052B4: D2890052 00010303
	s_and_b32 s82, s82, 0xffffff                               // 0000000052BC: 8652FF52 00FFFFFF
	s_cmp_lt_u32 s82, s66                                      // 0000000052C4: BF0A4252
	s_cselect_b32 s21, s36, s60                                // 0000000052C8: 85153C24
	s_mov_b64 exec, s[20:21]                                   // 0000000052CC: BEFE0114
	global_atomic_add_f32 v6, v42, s[8:9] offset:8             // 0000000052D0: DD348008 00082A06
	global_atomic_add_f32 v6, v46, s[8:9] offset:264           // 0000000052D8: DD348108 00082E06
	s_mov_b64 exec, s[36:37]                                   // 0000000052E0: BEFE0124
	v_mov_b32_e32 v6, v35                                      // 0000000052E4: 7E0C0323
	s_mov_b64 s[60:61], 0                                      // 0000000052E8: BEBC0180
	v_readlane_b32 s82, v3, 2                                  // 0000000052EC: D2890052 00010503
	s_and_b32 s82, s82, 0xffffff                               // 0000000052F4: 8652FF52 00FFFFFF
	s_cmp_lt_u32 s82, s66                                      // 0000000052FC: BF0A4252
	s_cselect_b32 s20, s36, s60                                // 000000005300: 85143C24
	v_readlane_b32 s82, v3, 3                                  // 000000005304: D2890052 00010703
	s_and_b32 s82, s82, 0xffffff                               // 00000000530C: 8652FF52 00FFFFFF
	s_cmp_lt_u32 s82, s66                                      // 000000005314: BF0A4252
	s_cselect_b32 s21, s36, s60                                // 000000005318: 85153C24
	s_mov_b64 exec, s[20:21]                                   // 00000000531C: BEFE0114
	global_atomic_add_f32 v6, v43, s[8:9] offset:8             // 000000005320: DD348008 00082B06
	global_atomic_add_f32 v6, v47, s[8:9] offset:264           // 000000005328: DD348108 00082F06
	s_mov_b64 exec, s[36:37]                                   // 000000005330: BEFE0124
	ds_write_b64 v20, v[48:49]                                 // 000000005334: D89A0000 00003014
	ds_write_b64 v20, v[52:53] offset:2176                     // 00000000533C: D89A0880 00003414
	s_waitcnt lgkmcnt(0)                                       // 000000005344: BF8CC07F
	s_barrier                                                  // 000000005348: BF8A0000
	ds_read_b32 v48, v21                                       // 00000000534C: D86C0000 30000015
	ds_read_b32 v49, v21 offset:64                             // 000000005354: D86C0040 31000015
	ds_read_b32 v52, v21 offset:2176                           // 00000000535C: D86C0880 34000015
	ds_read_b32 v53, v21 offset:2240                           // 000000005364: D86C08C0 35000015
	s_mul_i32 s60, s65, 4                                      // 00000000536C: 923C8441
	s_add_u32 s8, s60, s8                                      // 000000005370: 8008083C
	s_addc_u32 s9, 0, s9                                       // 000000005374: 82090980
	s_waitcnt lgkmcnt(0)                                       // 000000005378: BF8CC07F
	v_mov_b32_e32 v7, 0                                        // 00000000537C: 7E0E0280
	s_mov_b64 exec, s[36:37]                                   // 000000005380: BEFE0124
	v_mov_b32_e32 v6, v34                                      // 000000005384: 7E0C0322
	s_mov_b64 s[60:61], 0                                      // 000000005388: BEBC0180
	v_readlane_b32 s82, v3, 0                                  // 00000000538C: D2890052 00010103
	s_and_b32 s82, s82, 0xffffff                               // 000000005394: 8652FF52 00FFFFFF
	s_cmp_lt_u32 s82, s66                                      // 00000000539C: BF0A4252
	s_cselect_b32 s20, s36, s60                                // 0000000053A0: 85143C24
	v_readlane_b32 s82, v3, 1                                  // 0000000053A4: D2890052 00010303
	s_and_b32 s82, s82, 0xffffff                               // 0000000053AC: 8652FF52 00FFFFFF
	s_cmp_lt_u32 s82, s66                                      // 0000000053B4: BF0A4252
	s_cselect_b32 s21, s36, s60                                // 0000000053B8: 85153C24
	s_mov_b64 exec, s[20:21]                                   // 0000000053BC: BEFE0114
	global_atomic_add_f32 v6, v48, s[8:9]                      // 0000000053C0: DD348000 00083006
	global_atomic_add_f32 v6, v52, s[8:9] offset:256           // 0000000053C8: DD348100 00083406
	s_mov_b64 exec, s[36:37]                                   // 0000000053D0: BEFE0124
	v_mov_b32_e32 v6, v35                                      // 0000000053D4: 7E0C0323
	s_mov_b64 s[60:61], 0                                      // 0000000053D8: BEBC0180
	v_readlane_b32 s82, v3, 2                                  // 0000000053DC: D2890052 00010503
	s_and_b32 s82, s82, 0xffffff                               // 0000000053E4: 8652FF52 00FFFFFF
	s_cmp_lt_u32 s82, s66                                      // 0000000053EC: BF0A4252
	s_cselect_b32 s20, s36, s60                                // 0000000053F0: 85143C24
	v_readlane_b32 s82, v3, 3                                  // 0000000053F4: D2890052 00010703
	s_and_b32 s82, s82, 0xffffff                               // 0000000053FC: 8652FF52 00FFFFFF
	s_cmp_lt_u32 s82, s66                                      // 000000005404: BF0A4252
	s_cselect_b32 s21, s36, s60                                // 000000005408: 85153C24
	s_mov_b64 exec, s[20:21]                                   // 00000000540C: BEFE0114
	global_atomic_add_f32 v6, v49, s[8:9]                      // 000000005410: DD348000 00083106
	global_atomic_add_f32 v6, v53, s[8:9] offset:256           // 000000005418: DD348100 00083506
	s_mov_b64 exec, s[36:37]                                   // 000000005420: BEFE0124
	ds_write_b64 v20, v[50:51]                                 // 000000005424: D89A0000 00003214
	ds_write_b64 v20, v[54:55] offset:2176                     // 00000000542C: D89A0880 00003614
	s_waitcnt lgkmcnt(0)                                       // 000000005434: BF8CC07F
	s_barrier                                                  // 000000005438: BF8A0000
	ds_read_b32 v50, v21                                       // 00000000543C: D86C0000 32000015
	ds_read_b32 v51, v21 offset:64                             // 000000005444: D86C0040 33000015
	ds_read_b32 v54, v21 offset:2176                           // 00000000544C: D86C0880 36000015
	ds_read_b32 v55, v21 offset:2240                           // 000000005454: D86C08C0 37000015
	s_waitcnt lgkmcnt(0)                                       // 00000000545C: BF8CC07F
	v_mov_b32_e32 v7, 0                                        // 000000005460: 7E0E0280
	s_mov_b64 exec, s[36:37]                                   // 000000005464: BEFE0124
	v_mov_b32_e32 v6, v34                                      // 000000005468: 7E0C0322
	s_mov_b64 s[60:61], 0                                      // 00000000546C: BEBC0180
	v_readlane_b32 s82, v3, 0                                  // 000000005470: D2890052 00010103
	s_and_b32 s82, s82, 0xffffff                               // 000000005478: 8652FF52 00FFFFFF
	s_cmp_lt_u32 s82, s66                                      // 000000005480: BF0A4252
	s_cselect_b32 s20, s36, s60                                // 000000005484: 85143C24
	v_readlane_b32 s82, v3, 1                                  // 000000005488: D2890052 00010303
	s_and_b32 s82, s82, 0xffffff                               // 000000005490: 8652FF52 00FFFFFF
	s_cmp_lt_u32 s82, s66                                      // 000000005498: BF0A4252
	s_cselect_b32 s21, s36, s60                                // 00000000549C: 85153C24
	s_mov_b64 exec, s[20:21]                                   // 0000000054A0: BEFE0114
	global_atomic_add_f32 v6, v50, s[8:9] offset:8             // 0000000054A4: DD348008 00083206
	global_atomic_add_f32 v6, v54, s[8:9] offset:264           // 0000000054AC: DD348108 00083606
	s_mov_b64 exec, s[36:37]                                   // 0000000054B4: BEFE0124
	v_mov_b32_e32 v6, v35                                      // 0000000054B8: 7E0C0323
	s_mov_b64 s[60:61], 0                                      // 0000000054BC: BEBC0180
	v_readlane_b32 s82, v3, 2                                  // 0000000054C0: D2890052 00010503
	s_and_b32 s82, s82, 0xffffff                               // 0000000054C8: 8652FF52 00FFFFFF
	s_cmp_lt_u32 s82, s66                                      // 0000000054D0: BF0A4252
	s_cselect_b32 s20, s36, s60                                // 0000000054D4: 85143C24
	v_readlane_b32 s82, v3, 3                                  // 0000000054D8: D2890052 00010703
	s_and_b32 s82, s82, 0xffffff                               // 0000000054E0: 8652FF52 00FFFFFF
	s_cmp_lt_u32 s82, s66                                      // 0000000054E8: BF0A4252
	s_cselect_b32 s21, s36, s60                                // 0000000054EC: 85153C24
	s_mov_b64 exec, s[20:21]                                   // 0000000054F0: BEFE0114
	global_atomic_add_f32 v6, v51, s[8:9] offset:8             // 0000000054F4: DD348008 00083306
	global_atomic_add_f32 v6, v55, s[8:9] offset:264           // 0000000054FC: DD348108 00083706
	s_mov_b64 exec, s[36:37]                                   // 000000005504: BEFE0124
	s_branch label_0AC6                                        // 000000005508: BF820000

000000000000550c <label_0AC6>:
	s_waitcnt vmcnt(0) expcnt(0) lgkmcnt(0)                    // 00000000550C: BF8C0000
	s_endpgm                                                   // 000000005510: BF810000
